;; amdgpu-corpus repo=ROCm/rocFFT kind=compiled arch=gfx906 opt=O3
	.text
	.amdgcn_target "amdgcn-amd-amdhsa--gfx906"
	.amdhsa_code_object_version 6
	.protected	fft_rtc_back_len442_factors_17_2_13_wgs_238_tpt_34_halfLds_half_ip_CI_unitstride_sbrr_C2R_dirReg ; -- Begin function fft_rtc_back_len442_factors_17_2_13_wgs_238_tpt_34_halfLds_half_ip_CI_unitstride_sbrr_C2R_dirReg
	.globl	fft_rtc_back_len442_factors_17_2_13_wgs_238_tpt_34_halfLds_half_ip_CI_unitstride_sbrr_C2R_dirReg
	.p2align	8
	.type	fft_rtc_back_len442_factors_17_2_13_wgs_238_tpt_34_halfLds_half_ip_CI_unitstride_sbrr_C2R_dirReg,@function
fft_rtc_back_len442_factors_17_2_13_wgs_238_tpt_34_halfLds_half_ip_CI_unitstride_sbrr_C2R_dirReg: ; @fft_rtc_back_len442_factors_17_2_13_wgs_238_tpt_34_halfLds_half_ip_CI_unitstride_sbrr_C2R_dirReg
; %bb.0:
	s_load_dwordx2 s[12:13], s[4:5], 0x50
	s_load_dwordx4 s[8:11], s[4:5], 0x0
	s_load_dwordx2 s[2:3], s[4:5], 0x18
	v_mul_u32_u24_e32 v1, 0x788, v0
	v_lshrrev_b32_e32 v1, 16, v1
	v_mad_u64_u32 v[1:2], s[0:1], s6, 7, v[1:2]
	v_mov_b32_e32 v5, 0
	s_waitcnt lgkmcnt(0)
	v_cmp_lt_u64_e64 s[0:1], s[10:11], 2
	v_mov_b32_e32 v2, v5
	v_mov_b32_e32 v3, 0
	;; [unrolled: 1-line block ×3, first 2 shown]
	s_and_b64 vcc, exec, s[0:1]
	v_mov_b32_e32 v4, 0
	v_mov_b32_e32 v9, v1
	s_cbranch_vccnz .LBB0_8
; %bb.1:
	s_load_dwordx2 s[0:1], s[4:5], 0x10
	s_add_u32 s6, s2, 8
	s_addc_u32 s7, s3, 0
	v_mov_b32_e32 v3, 0
	v_mov_b32_e32 v8, v2
	s_waitcnt lgkmcnt(0)
	s_add_u32 s16, s0, 8
	s_mov_b64 s[14:15], 1
	v_mov_b32_e32 v4, 0
	s_addc_u32 s17, s1, 0
	v_mov_b32_e32 v7, v1
.LBB0_2:                                ; =>This Inner Loop Header: Depth=1
	s_load_dwordx2 s[18:19], s[16:17], 0x0
                                        ; implicit-def: $vgpr9_vgpr10
	s_waitcnt lgkmcnt(0)
	v_or_b32_e32 v6, s19, v8
	v_cmp_ne_u64_e32 vcc, 0, v[5:6]
	s_and_saveexec_b64 s[0:1], vcc
	s_xor_b64 s[20:21], exec, s[0:1]
	s_cbranch_execz .LBB0_4
; %bb.3:                                ;   in Loop: Header=BB0_2 Depth=1
	v_cvt_f32_u32_e32 v2, s18
	v_cvt_f32_u32_e32 v6, s19
	s_sub_u32 s0, 0, s18
	s_subb_u32 s1, 0, s19
	v_mac_f32_e32 v2, 0x4f800000, v6
	v_rcp_f32_e32 v2, v2
	v_mul_f32_e32 v2, 0x5f7ffffc, v2
	v_mul_f32_e32 v6, 0x2f800000, v2
	v_trunc_f32_e32 v6, v6
	v_mac_f32_e32 v2, 0xcf800000, v6
	v_cvt_u32_f32_e32 v6, v6
	v_cvt_u32_f32_e32 v2, v2
	v_mul_lo_u32 v9, s0, v6
	v_mul_hi_u32 v10, s0, v2
	v_mul_lo_u32 v12, s1, v2
	v_mul_lo_u32 v11, s0, v2
	v_add_u32_e32 v9, v10, v9
	v_add_u32_e32 v9, v9, v12
	v_mul_hi_u32 v10, v2, v11
	v_mul_lo_u32 v12, v2, v9
	v_mul_hi_u32 v14, v2, v9
	v_mul_hi_u32 v13, v6, v11
	v_mul_lo_u32 v11, v6, v11
	v_mul_hi_u32 v15, v6, v9
	v_add_co_u32_e32 v10, vcc, v10, v12
	v_addc_co_u32_e32 v12, vcc, 0, v14, vcc
	v_mul_lo_u32 v9, v6, v9
	v_add_co_u32_e32 v10, vcc, v10, v11
	v_addc_co_u32_e32 v10, vcc, v12, v13, vcc
	v_addc_co_u32_e32 v11, vcc, 0, v15, vcc
	v_add_co_u32_e32 v9, vcc, v10, v9
	v_addc_co_u32_e32 v10, vcc, 0, v11, vcc
	v_add_co_u32_e32 v2, vcc, v2, v9
	v_addc_co_u32_e32 v6, vcc, v6, v10, vcc
	v_mul_lo_u32 v9, s0, v6
	v_mul_hi_u32 v10, s0, v2
	v_mul_lo_u32 v11, s1, v2
	v_mul_lo_u32 v12, s0, v2
	v_add_u32_e32 v9, v10, v9
	v_add_u32_e32 v9, v9, v11
	v_mul_lo_u32 v13, v2, v9
	v_mul_hi_u32 v14, v2, v12
	v_mul_hi_u32 v15, v2, v9
	;; [unrolled: 1-line block ×3, first 2 shown]
	v_mul_lo_u32 v12, v6, v12
	v_mul_hi_u32 v10, v6, v9
	v_add_co_u32_e32 v13, vcc, v14, v13
	v_addc_co_u32_e32 v14, vcc, 0, v15, vcc
	v_mul_lo_u32 v9, v6, v9
	v_add_co_u32_e32 v12, vcc, v13, v12
	v_addc_co_u32_e32 v11, vcc, v14, v11, vcc
	v_addc_co_u32_e32 v10, vcc, 0, v10, vcc
	v_add_co_u32_e32 v9, vcc, v11, v9
	v_addc_co_u32_e32 v10, vcc, 0, v10, vcc
	v_add_co_u32_e32 v2, vcc, v2, v9
	v_addc_co_u32_e32 v6, vcc, v6, v10, vcc
	v_mad_u64_u32 v[9:10], s[0:1], v7, v6, 0
	v_mul_hi_u32 v11, v7, v2
	v_add_co_u32_e32 v13, vcc, v11, v9
	v_addc_co_u32_e32 v14, vcc, 0, v10, vcc
	v_mad_u64_u32 v[9:10], s[0:1], v8, v2, 0
	v_mad_u64_u32 v[11:12], s[0:1], v8, v6, 0
	v_add_co_u32_e32 v2, vcc, v13, v9
	v_addc_co_u32_e32 v2, vcc, v14, v10, vcc
	v_addc_co_u32_e32 v6, vcc, 0, v12, vcc
	v_add_co_u32_e32 v2, vcc, v2, v11
	v_addc_co_u32_e32 v6, vcc, 0, v6, vcc
	v_mul_lo_u32 v11, s19, v2
	v_mul_lo_u32 v12, s18, v6
	v_mad_u64_u32 v[9:10], s[0:1], s18, v2, 0
	v_add3_u32 v10, v10, v12, v11
	v_sub_u32_e32 v11, v8, v10
	v_mov_b32_e32 v12, s19
	v_sub_co_u32_e32 v9, vcc, v7, v9
	v_subb_co_u32_e64 v11, s[0:1], v11, v12, vcc
	v_subrev_co_u32_e64 v12, s[0:1], s18, v9
	v_subbrev_co_u32_e64 v11, s[0:1], 0, v11, s[0:1]
	v_cmp_le_u32_e64 s[0:1], s19, v11
	v_cndmask_b32_e64 v13, 0, -1, s[0:1]
	v_cmp_le_u32_e64 s[0:1], s18, v12
	v_cndmask_b32_e64 v12, 0, -1, s[0:1]
	v_cmp_eq_u32_e64 s[0:1], s19, v11
	v_cndmask_b32_e64 v11, v13, v12, s[0:1]
	v_add_co_u32_e64 v12, s[0:1], 2, v2
	v_addc_co_u32_e64 v13, s[0:1], 0, v6, s[0:1]
	v_add_co_u32_e64 v14, s[0:1], 1, v2
	v_addc_co_u32_e64 v15, s[0:1], 0, v6, s[0:1]
	v_subb_co_u32_e32 v10, vcc, v8, v10, vcc
	v_cmp_ne_u32_e64 s[0:1], 0, v11
	v_cmp_le_u32_e32 vcc, s19, v10
	v_cndmask_b32_e64 v11, v15, v13, s[0:1]
	v_cndmask_b32_e64 v13, 0, -1, vcc
	v_cmp_le_u32_e32 vcc, s18, v9
	v_cndmask_b32_e64 v9, 0, -1, vcc
	v_cmp_eq_u32_e32 vcc, s19, v10
	v_cndmask_b32_e32 v9, v13, v9, vcc
	v_cmp_ne_u32_e32 vcc, 0, v9
	v_cndmask_b32_e32 v10, v6, v11, vcc
	v_cndmask_b32_e64 v6, v14, v12, s[0:1]
	v_cndmask_b32_e32 v9, v2, v6, vcc
.LBB0_4:                                ;   in Loop: Header=BB0_2 Depth=1
	s_andn2_saveexec_b64 s[0:1], s[20:21]
	s_cbranch_execz .LBB0_6
; %bb.5:                                ;   in Loop: Header=BB0_2 Depth=1
	v_cvt_f32_u32_e32 v2, s18
	s_sub_i32 s20, 0, s18
	v_rcp_iflag_f32_e32 v2, v2
	v_mul_f32_e32 v2, 0x4f7ffffe, v2
	v_cvt_u32_f32_e32 v2, v2
	v_mul_lo_u32 v6, s20, v2
	v_mul_hi_u32 v6, v2, v6
	v_add_u32_e32 v2, v2, v6
	v_mul_hi_u32 v2, v7, v2
	v_mul_lo_u32 v6, v2, s18
	v_add_u32_e32 v9, 1, v2
	v_sub_u32_e32 v6, v7, v6
	v_subrev_u32_e32 v10, s18, v6
	v_cmp_le_u32_e32 vcc, s18, v6
	v_cndmask_b32_e32 v6, v6, v10, vcc
	v_cndmask_b32_e32 v2, v2, v9, vcc
	v_add_u32_e32 v9, 1, v2
	v_cmp_le_u32_e32 vcc, s18, v6
	v_cndmask_b32_e32 v9, v2, v9, vcc
	v_mov_b32_e32 v10, v5
.LBB0_6:                                ;   in Loop: Header=BB0_2 Depth=1
	s_or_b64 exec, exec, s[0:1]
	v_mul_lo_u32 v2, v10, s18
	v_mul_lo_u32 v6, v9, s19
	v_mad_u64_u32 v[11:12], s[0:1], v9, s18, 0
	s_load_dwordx2 s[0:1], s[6:7], 0x0
	s_add_u32 s14, s14, 1
	v_add3_u32 v2, v12, v6, v2
	v_sub_co_u32_e32 v6, vcc, v7, v11
	v_subb_co_u32_e32 v2, vcc, v8, v2, vcc
	s_waitcnt lgkmcnt(0)
	v_mul_lo_u32 v2, s0, v2
	v_mul_lo_u32 v7, s1, v6
	v_mad_u64_u32 v[3:4], s[0:1], s0, v6, v[3:4]
	s_addc_u32 s15, s15, 0
	s_add_u32 s6, s6, 8
	v_add3_u32 v4, v7, v4, v2
	v_mov_b32_e32 v6, s10
	v_mov_b32_e32 v7, s11
	s_addc_u32 s7, s7, 0
	v_cmp_ge_u64_e32 vcc, s[14:15], v[6:7]
	s_add_u32 s16, s16, 8
	s_addc_u32 s17, s17, 0
	s_cbranch_vccnz .LBB0_8
; %bb.7:                                ;   in Loop: Header=BB0_2 Depth=1
	v_mov_b32_e32 v7, v9
	v_mov_b32_e32 v8, v10
	s_branch .LBB0_2
.LBB0_8:
	s_lshl_b64 s[0:1], s[10:11], 3
	s_add_u32 s0, s2, s0
	s_addc_u32 s1, s3, s1
	s_load_dwordx2 s[2:3], s[0:1], 0x0
	s_load_dwordx2 s[6:7], s[4:5], 0x20
	s_mov_b32 s0, 0x24924925
	v_mul_hi_u32 v5, v1, s0
	s_waitcnt lgkmcnt(0)
	v_mad_u64_u32 v[2:3], s[0:1], s2, v9, v[3:4]
	v_sub_u32_e32 v4, v1, v5
	v_lshrrev_b32_e32 v4, 1, v4
	v_add_u32_e32 v4, v4, v5
	v_lshrrev_b32_e32 v4, 2, v4
	v_mul_lo_u32 v6, s2, v10
	v_mul_lo_u32 v7, s3, v9
	;; [unrolled: 1-line block ×3, first 2 shown]
	s_mov_b32 s0, 0x7878788
	v_mul_hi_u32 v5, v0, s0
	v_add3_u32 v3, v7, v3, v6
	v_sub_u32_e32 v1, v1, v4
	v_mul_u32_u24_e32 v6, 0x1bb, v1
	v_cmp_gt_u64_e32 vcc, s[6:7], v[9:10]
	v_mul_u32_u24_e32 v1, 34, v5
	v_lshlrev_b64 v[2:3], 2, v[2:3]
	v_sub_u32_e32 v0, v0, v1
	v_lshlrev_b32_e32 v24, 2, v6
	s_and_saveexec_b64 s[2:3], vcc
	s_cbranch_execz .LBB0_12
; %bb.9:
	v_mov_b32_e32 v1, 0
	v_mov_b32_e32 v5, s13
	v_add_co_u32_e64 v4, s[0:1], s12, v2
	v_lshlrev_b64 v[7:8], 2, v[0:1]
	v_addc_co_u32_e64 v5, s[0:1], v5, v3, s[0:1]
	v_add_co_u32_e64 v7, s[0:1], v4, v7
	v_addc_co_u32_e64 v8, s[0:1], v5, v8, s[0:1]
	global_load_dword v9, v[7:8], off
	global_load_dword v10, v[7:8], off offset:136
	global_load_dword v11, v[7:8], off offset:272
	;; [unrolled: 1-line block ×12, first 2 shown]
	v_lshlrev_b32_e32 v1, 2, v0
	v_add3_u32 v1, 0, v24, v1
	v_cmp_eq_u32_e64 s[0:1], 33, v0
	v_add_u32_e32 v7, 0x400, v1
	s_waitcnt vmcnt(11)
	ds_write2_b32 v1, v9, v10 offset1:34
	s_waitcnt vmcnt(9)
	ds_write2_b32 v1, v11, v12 offset0:68 offset1:102
	s_waitcnt vmcnt(7)
	ds_write2_b32 v1, v13, v14 offset0:136 offset1:170
	;; [unrolled: 2-line block ×5, first 2 shown]
	s_waitcnt vmcnt(0)
	ds_write_b32 v1, v21 offset:1632
	s_and_saveexec_b64 s[4:5], s[0:1]
	s_cbranch_execz .LBB0_11
; %bb.10:
	global_load_dword v0, v[4:5], off offset:1768
	s_waitcnt vmcnt(0)
	ds_write_b32 v1, v0 offset:1636
	v_mov_b32_e32 v0, 33
.LBB0_11:
	s_or_b64 exec, exec, s[4:5]
.LBB0_12:
	s_or_b64 exec, exec, s[2:3]
	v_lshl_add_u32 v22, v6, 2, 0
	v_lshlrev_b32_e32 v6, 2, v0
	v_add_u32_e32 v23, v22, v6
	s_waitcnt lgkmcnt(0)
	s_barrier
	v_sub_u32_e32 v7, v22, v6
	ds_read_u16 v10, v23
	ds_read_u16 v11, v7 offset:1768
	v_cmp_ne_u32_e64 s[0:1], 0, v0
                                        ; implicit-def: $vgpr4_vgpr5
	s_waitcnt lgkmcnt(0)
	v_add_f16_e32 v8, v11, v10
	v_sub_f16_e32 v9, v10, v11
	s_and_saveexec_b64 s[2:3], s[0:1]
	s_xor_b64 s[2:3], exec, s[2:3]
	s_cbranch_execz .LBB0_14
; %bb.13:
	v_mov_b32_e32 v1, 0
	v_lshlrev_b64 v[4:5], 2, v[0:1]
	v_mov_b32_e32 v8, s9
	v_add_co_u32_e64 v4, s[0:1], s8, v4
	v_addc_co_u32_e64 v5, s[0:1], v8, v5, s[0:1]
	global_load_dword v4, v[4:5], off offset:1700
	ds_read_u16 v5, v7 offset:1770
	ds_read_u16 v8, v23 offset:2
	v_add_f16_e32 v9, v11, v10
	v_sub_f16_e32 v10, v10, v11
	s_waitcnt lgkmcnt(0)
	v_add_f16_e32 v11, v5, v8
	v_sub_f16_e32 v5, v8, v5
	s_waitcnt vmcnt(0)
	v_lshrrev_b32_e32 v8, 16, v4
	v_fma_f16 v12, v10, v8, v9
	v_fma_f16 v13, v11, v8, v5
	v_fma_f16 v14, -v10, v8, v9
	v_fma_f16 v5, v11, v8, -v5
	v_fma_f16 v8, -v4, v11, v12
	v_fma_f16 v9, v10, v4, v13
	v_fma_f16 v11, v4, v11, v14
	;; [unrolled: 1-line block ×3, first 2 shown]
	v_pack_b32_f16 v4, v11, v4
	ds_write_b32 v7, v4 offset:1768
	v_mov_b32_e32 v5, v1
	v_mov_b32_e32 v4, v0
.LBB0_14:
	s_andn2_saveexec_b64 s[0:1], s[2:3]
	s_cbranch_execz .LBB0_16
; %bb.15:
	ds_read_b32 v1, v22 offset:884
	s_mov_b32 s2, 0xc0004000
	v_mov_b32_e32 v4, 0
	v_mov_b32_e32 v5, 0
	s_waitcnt lgkmcnt(0)
	v_pk_mul_f16 v1, v1, s2
	ds_write_b32 v22, v1 offset:884
.LBB0_16:
	s_or_b64 exec, exec, s[0:1]
	s_add_u32 s0, s8, 0x6a4
	v_lshlrev_b64 v[4:5], 2, v[4:5]
	s_addc_u32 s1, s9, 0
	v_mov_b32_e32 v1, s1
	v_add_co_u32_e64 v4, s[0:1], s0, v4
	v_addc_co_u32_e64 v5, s[0:1], v1, v5, s[0:1]
	global_load_dword v1, v[4:5], off offset:136
	global_load_dword v10, v[4:5], off offset:272
	;; [unrolled: 1-line block ×4, first 2 shown]
	s_mov_b32 s0, 0x5040100
	v_perm_b32 v8, v9, v8, s0
	ds_write_b32 v23, v8
	ds_read_b32 v8, v23 offset:136
	ds_read_b32 v9, v7 offset:1632
	global_load_dword v13, v[4:5], off offset:680
	v_cmp_gt_u32_e64 s[0:1], 17, v0
	s_waitcnt lgkmcnt(0)
	v_add_f16_e32 v14, v8, v9
	v_add_f16_sdwa v15, v9, v8 dst_sel:DWORD dst_unused:UNUSED_PAD src0_sel:WORD_1 src1_sel:WORD_1
	v_sub_f16_e32 v16, v8, v9
	v_sub_f16_sdwa v8, v8, v9 dst_sel:DWORD dst_unused:UNUSED_PAD src0_sel:WORD_1 src1_sel:WORD_1
	s_waitcnt vmcnt(4)
	v_lshrrev_b32_e32 v9, 16, v1
	v_fma_f16 v17, v16, v9, v14
	v_fma_f16 v18, v15, v9, v8
	v_fma_f16 v14, -v16, v9, v14
	v_fma_f16 v8, v15, v9, -v8
	v_fma_f16 v9, -v1, v15, v17
	v_fma_f16 v17, v16, v1, v18
	v_fma_f16 v14, v1, v15, v14
	v_fma_f16 v1, v16, v1, v8
	v_pack_b32_f16 v8, v9, v17
	v_pack_b32_f16 v1, v14, v1
	ds_write_b32 v23, v8 offset:136
	ds_write_b32 v7, v1 offset:1632
	ds_read_b32 v1, v23 offset:272
	ds_read_b32 v8, v7 offset:1496
	s_waitcnt vmcnt(3)
	v_lshrrev_b32_e32 v9, 16, v10
	s_waitcnt lgkmcnt(0)
	v_add_f16_e32 v14, v1, v8
	v_add_f16_sdwa v15, v8, v1 dst_sel:DWORD dst_unused:UNUSED_PAD src0_sel:WORD_1 src1_sel:WORD_1
	v_sub_f16_e32 v16, v1, v8
	v_sub_f16_sdwa v1, v1, v8 dst_sel:DWORD dst_unused:UNUSED_PAD src0_sel:WORD_1 src1_sel:WORD_1
	v_fma_f16 v8, v16, v9, v14
	v_fma_f16 v17, v15, v9, v1
	v_fma_f16 v14, -v16, v9, v14
	v_fma_f16 v1, v15, v9, -v1
	v_fma_f16 v8, -v10, v15, v8
	v_fma_f16 v9, v16, v10, v17
	v_fma_f16 v14, v10, v15, v14
	v_fma_f16 v1, v16, v10, v1
	v_pack_b32_f16 v8, v8, v9
	v_pack_b32_f16 v1, v14, v1
	ds_write_b32 v23, v8 offset:272
	ds_write_b32 v7, v1 offset:1496
	ds_read_b32 v1, v23 offset:408
	ds_read_b32 v8, v7 offset:1360
	s_waitcnt vmcnt(2)
	v_lshrrev_b32_e32 v9, 16, v11
	s_waitcnt lgkmcnt(0)
	v_add_f16_e32 v10, v1, v8
	v_add_f16_sdwa v14, v8, v1 dst_sel:DWORD dst_unused:UNUSED_PAD src0_sel:WORD_1 src1_sel:WORD_1
	v_sub_f16_e32 v15, v1, v8
	v_sub_f16_sdwa v1, v1, v8 dst_sel:DWORD dst_unused:UNUSED_PAD src0_sel:WORD_1 src1_sel:WORD_1
	;; [unrolled: 21-line block ×4, first 2 shown]
	v_fma_f16 v8, v12, v9, v10
	v_fma_f16 v14, v11, v9, v1
	v_fma_f16 v10, -v12, v9, v10
	v_fma_f16 v1, v11, v9, -v1
	v_fma_f16 v8, -v13, v11, v8
	v_fma_f16 v9, v12, v13, v14
	v_fma_f16 v10, v13, v11, v10
	;; [unrolled: 1-line block ×3, first 2 shown]
	v_pack_b32_f16 v8, v8, v9
	v_pack_b32_f16 v1, v10, v1
	ds_write_b32 v23, v8 offset:680
	ds_write_b32 v7, v1 offset:1088
	s_and_saveexec_b64 s[2:3], s[0:1]
	s_cbranch_execz .LBB0_18
; %bb.17:
	global_load_dword v1, v[4:5], off offset:816
	ds_read_b32 v4, v23 offset:816
	ds_read_b32 v5, v7 offset:952
	s_waitcnt lgkmcnt(0)
	v_add_f16_e32 v8, v4, v5
	v_add_f16_sdwa v9, v5, v4 dst_sel:DWORD dst_unused:UNUSED_PAD src0_sel:WORD_1 src1_sel:WORD_1
	v_sub_f16_e32 v10, v4, v5
	v_sub_f16_sdwa v4, v4, v5 dst_sel:DWORD dst_unused:UNUSED_PAD src0_sel:WORD_1 src1_sel:WORD_1
	s_waitcnt vmcnt(0)
	v_lshrrev_b32_e32 v5, 16, v1
	v_fma_f16 v11, v10, v5, v8
	v_fma_f16 v12, v9, v5, v4
	v_fma_f16 v8, -v10, v5, v8
	v_fma_f16 v4, v9, v5, -v4
	v_fma_f16 v5, -v1, v9, v11
	v_fma_f16 v11, v10, v1, v12
	v_fma_f16 v8, v1, v9, v8
	v_fma_f16 v1, v10, v1, v4
	v_pack_b32_f16 v4, v5, v11
	v_pack_b32_f16 v1, v8, v1
	ds_write_b32 v23, v4 offset:816
	ds_write_b32 v7, v1 offset:952
.LBB0_18:
	s_or_b64 exec, exec, s[2:3]
	v_add3_u32 v1, 0, v6, v24
	s_waitcnt lgkmcnt(0)
	s_barrier
	s_barrier
	ds_read2_b32 v[10:11], v1 offset0:26 offset1:52
	v_add_u32_e32 v25, 0x400, v1
	ds_read2_b32 v[6:7], v25 offset0:134 offset1:160
	ds_read_b32 v28, v23
	ds_read2_b32 v[8:9], v25 offset0:82 offset1:108
	ds_read2_b32 v[16:17], v1 offset0:78 offset1:104
	s_mov_b32 s23, 0xbbf7
	s_movk_i32 s7, 0x2de8
	s_waitcnt lgkmcnt(3)
	v_pk_add_f16 v29, v10, v7 neg_lo:[0,1] neg_hi:[0,1]
	v_pk_add_f16 v31, v7, v10
	v_mul_f16_sdwa v47, v29, s23 dst_sel:DWORD dst_unused:UNUSED_PAD src0_sel:WORD_1 src1_sel:DWORD
	v_pk_add_f16 v30, v11, v6 neg_lo:[0,1] neg_hi:[0,1]
	s_mov_b32 s11, 0xb1e1
	v_fma_f16 v4, v31, s7, -v47
	s_mov_b32 s6, 0xbbb2
	v_pk_add_f16 v32, v6, v11
	s_mov_b32 s14, 0xbbdd
	v_mul_f16_sdwa v49, v30, s11 dst_sel:DWORD dst_unused:UNUSED_PAD src0_sel:WORD_1 src1_sel:DWORD
	s_waitcnt lgkmcnt(2)
	v_add_f16_e32 v4, v28, v4
	s_mov_b32 s10, 0xb461
	v_mul_f16_sdwa v50, v29, s6 dst_sel:DWORD dst_unused:UNUSED_PAD src0_sel:WORD_1 src1_sel:DWORD
	v_fma_f16 v5, v32, s14, -v49
	s_movk_i32 s24, 0x3836
	v_add_f16_e32 v4, v5, v4
	v_fma_f16 v5, v31, s10, -v50
	s_mov_b32 s15, 0xbacd
	v_mul_f16_sdwa v53, v30, s24 dst_sel:DWORD dst_unused:UNUSED_PAD src0_sel:WORD_1 src1_sel:DWORD
	s_movk_i32 s26, 0x3bb2
	s_waitcnt lgkmcnt(0)
	v_pk_add_f16 v33, v16, v9 neg_lo:[0,1] neg_hi:[0,1]
	v_add_f16_e32 v5, v28, v5
	v_fma_f16 v12, v32, s15, -v53
	v_pk_add_f16 v36, v9, v16
	v_mul_f16_sdwa v51, v33, s26 dst_sel:DWORD dst_unused:UNUSED_PAD src0_sel:WORD_1 src1_sel:DWORD
	s_movk_i32 s16, 0x3964
	v_add_f16_e32 v5, v12, v5
	v_fma_f16 v12, v36, s10, -v51
	s_movk_i32 s18, 0x39e9
	v_mul_f16_sdwa v55, v33, s16 dst_sel:DWORD dst_unused:UNUSED_PAD src0_sel:WORD_1 src1_sel:DWORD
	s_movk_i32 s17, 0x35c8
	v_pk_add_f16 v35, v17, v8 neg_lo:[0,1] neg_hi:[0,1]
	v_add_f16_e32 v4, v12, v4
	v_fma_f16 v12, v36, s18, -v55
	s_movk_i32 s20, 0x3b76
	v_pk_add_f16 v37, v8, v17
	v_mul_f16_sdwa v52, v35, s17 dst_sel:DWORD dst_unused:UNUSED_PAD src0_sel:WORD_1 src1_sel:DWORD
	v_add_f16_e32 v5, v12, v5
	v_fma_f16 v12, v37, s20, -v52
	v_add_f16_e32 v4, v12, v4
	ds_read2_b32 v[12:13], v25 offset0:30 offset1:56
	ds_read2_b32 v[14:15], v1 offset0:130 offset1:156
	s_mov_b32 s28, 0xbb29
	s_movk_i32 s19, 0x3722
	v_mul_f16_sdwa v60, v35, s28 dst_sel:DWORD dst_unused:UNUSED_PAD src0_sel:WORD_1 src1_sel:DWORD
	v_fma_f16 v18, v37, s19, -v60
	s_waitcnt lgkmcnt(0)
	v_pk_add_f16 v38, v14, v13 neg_lo:[0,1] neg_hi:[0,1]
	v_pk_add_f16 v40, v13, v14
	v_mul_f16_sdwa v54, v38, s28 dst_sel:DWORD dst_unused:UNUSED_PAD src0_sel:WORD_1 src1_sel:DWORD
	v_add_f16_e32 v5, v18, v5
	v_fma_f16 v18, v40, s19, -v54
	v_mul_f16_sdwa v64, v38, s11 dst_sel:DWORD dst_unused:UNUSED_PAD src0_sel:WORD_1 src1_sel:DWORD
	s_mov_b32 s21, 0xb836
	v_pk_add_f16 v39, v15, v12 neg_lo:[0,1] neg_hi:[0,1]
	v_add_f16_e32 v4, v18, v4
	v_fma_f16 v18, v40, s14, -v64
	v_pk_add_f16 v41, v12, v15
	v_mul_f16_sdwa v56, v39, s21 dst_sel:DWORD dst_unused:UNUSED_PAD src0_sel:WORD_1 src1_sel:DWORD
	v_add_f16_e32 v5, v18, v5
	v_fma_f16 v18, v41, s15, -v56
	v_add_f16_e32 v4, v18, v4
	v_add_u32_e32 v34, 0x200, v1
	ds_read2_b32 v[20:21], v1 offset0:182 offset1:208
	ds_read2_b32 v[18:19], v34 offset0:106 offset1:132
	s_movk_i32 s22, 0x3bf7
	v_mul_f16_sdwa v69, v39, s22 dst_sel:DWORD dst_unused:UNUSED_PAD src0_sel:WORD_1 src1_sel:DWORD
	s_movk_i32 s30, 0x3a62
	v_fma_f16 v26, v41, s7, -v69
	s_waitcnt lgkmcnt(0)
	v_pk_add_f16 v42, v20, v19 neg_lo:[0,1] neg_hi:[0,1]
	s_mov_b32 s25, 0xb8d2
	v_pk_add_f16 v44, v19, v20
	v_mul_f16_sdwa v66, v42, s30 dst_sel:DWORD dst_unused:UNUSED_PAD src0_sel:WORD_1 src1_sel:DWORD
	s_mov_b32 s29, 0xb5c8
	v_add_f16_e32 v5, v26, v5
	v_fma_f16 v26, v44, s25, -v66
	v_mul_f16_sdwa v70, v42, s29 dst_sel:DWORD dst_unused:UNUSED_PAD src0_sel:WORD_1 src1_sel:DWORD
	v_pk_add_f16 v43, v21, v18 neg_lo:[0,1] neg_hi:[0,1]
	v_add_f16_e32 v4, v26, v4
	v_fma_f16 v26, v44, s20, -v70
	v_pk_add_f16 v45, v18, v21
	v_mul_f16_sdwa v68, v43, s16 dst_sel:DWORD dst_unused:UNUSED_PAD src0_sel:WORD_1 src1_sel:DWORD
	s_mov_b32 s27, 0xba62
	v_add_f16_e32 v26, v26, v5
	v_fma_f16 v5, v45, s18, -v68
	v_mul_f16_sdwa v71, v43, s27 dst_sel:DWORD dst_unused:UNUSED_PAD src0_sel:WORD_1 src1_sel:DWORD
	v_lshrrev_b32_e32 v57, 16, v31
	v_add_f16_e32 v5, v5, v4
	v_fma_f16 v4, v45, s25, -v71
	v_mul_f16_e32 v72, 0x2de8, v57
	v_lshrrev_b32_e32 v58, 16, v32
	v_add_f16_e32 v4, v4, v26
	v_fma_f16 v26, v29, s23, v72
	v_mul_f16_e32 v73, 0xbbdd, v58
	v_add_f16_sdwa v26, v28, v26 dst_sel:DWORD dst_unused:UNUSED_PAD src0_sel:WORD_1 src1_sel:DWORD
	v_fma_f16 v27, v30, s11, v73
	v_mul_f16_e32 v80, 0xb461, v57
	v_add_f16_e32 v26, v27, v26
	v_fma_f16 v27, v29, s6, v80
	v_mul_f16_e32 v81, 0xbacd, v58
	v_lshrrev_b32_e32 v59, 16, v36
	v_add_f16_sdwa v27, v28, v27 dst_sel:DWORD dst_unused:UNUSED_PAD src0_sel:WORD_1 src1_sel:DWORD
	v_fma_f16 v46, v30, s24, v81
	v_mul_f16_e32 v74, 0xb461, v59
	v_add_f16_e32 v27, v46, v27
	v_fma_f16 v46, v33, s26, v74
	v_mul_f16_e32 v82, 0x39e9, v59
	v_lshrrev_b32_e32 v61, 16, v37
	v_add_f16_e32 v26, v46, v26
	v_fma_f16 v46, v33, s16, v82
	v_mul_f16_e32 v75, 0x3b76, v61
	v_add_f16_e32 v27, v46, v27
	v_fma_f16 v46, v35, s17, v75
	v_mul_f16_e32 v83, 0x3722, v61
	v_lshrrev_b32_e32 v62, 16, v40
	v_add_f16_e32 v26, v46, v26
	;; [unrolled: 7-line block ×5, first 2 shown]
	v_fma_f16 v46, v42, s29, v86
	v_mul_f16_e32 v79, 0x39e9, v67
	v_add_f16_e32 v46, v46, v27
	v_fma_f16 v27, v43, s16, v79
	v_mul_f16_e32 v87, 0xb8d2, v67
	v_add_f16_e32 v27, v27, v26
	v_fma_f16 v26, v43, s27, v87
	v_add_f16_e32 v26, v26, v46
	v_cmp_gt_u32_e64 s[2:3], 26, v0
	s_barrier
	s_and_saveexec_b64 s[4:5], s[2:3]
	s_cbranch_execz .LBB0_20
; %bb.19:
	v_mul_f16_e32 v88, 0xba62, v29
	v_fma_f16 v46, v57, s25, v88
	v_mul_f16_e32 v89, 0x3bb2, v30
	v_add_f16_sdwa v46, v28, v46 dst_sel:DWORD dst_unused:UNUSED_PAD src0_sel:WORD_1 src1_sel:DWORD
	v_fma_f16 v48, v58, s10, v89
	v_mul_f16_e32 v90, 0xb5c8, v33
	v_add_f16_e32 v46, v48, v46
	v_fma_f16 v48, v59, s20, v90
	v_mul_f16_e32 v91, 0xb836, v35
	v_add_f16_e32 v46, v48, v46
	;; [unrolled: 3-line block ×6, first 2 shown]
	v_fma_f16 v48, v67, s19, v95
	v_mul_f16_sdwa v96, v29, s27 dst_sel:DWORD dst_unused:UNUSED_PAD src0_sel:WORD_1 src1_sel:DWORD
	v_add_f16_e32 v46, v48, v46
	v_fma_f16 v48, v31, s25, -v96
	v_mul_f16_sdwa v97, v30, s26 dst_sel:DWORD dst_unused:UNUSED_PAD src0_sel:WORD_1 src1_sel:DWORD
	v_add_f16_e32 v48, v28, v48
	v_fma_f16 v98, v32, s10, -v97
	v_add_f16_e32 v48, v98, v48
	v_mul_f16_sdwa v98, v33, s29 dst_sel:DWORD dst_unused:UNUSED_PAD src0_sel:WORD_1 src1_sel:DWORD
	v_fma_f16 v99, v36, s20, -v98
	v_add_f16_e32 v48, v99, v48
	v_mul_f16_sdwa v99, v35, s21 dst_sel:DWORD dst_unused:UNUSED_PAD src0_sel:WORD_1 src1_sel:DWORD
	;; [unrolled: 3-line block ×3, first 2 shown]
	s_mov_b32 s3, 0xb964
	v_fma_f16 v101, v40, s7, -v100
	v_add_f16_e32 v48, v101, v48
	v_mul_f16_sdwa v101, v39, s3 dst_sel:DWORD dst_unused:UNUSED_PAD src0_sel:WORD_1 src1_sel:DWORD
	v_fma_f16 v102, v41, s18, -v101
	v_add_f16_e32 v48, v102, v48
	v_mul_f16_sdwa v102, v42, s11 dst_sel:DWORD dst_unused:UNUSED_PAD src0_sel:WORD_1 src1_sel:DWORD
	s_movk_i32 s2, 0x3b29
	v_fma_f16 v103, v44, s14, -v102
	v_add_f16_e32 v48, v103, v48
	v_mul_f16_sdwa v103, v43, s2 dst_sel:DWORD dst_unused:UNUSED_PAD src0_sel:WORD_1 src1_sel:DWORD
	v_fma_f16 v104, v45, s19, -v103
	v_add_f16_e32 v48, v104, v48
	v_mul_f16_e32 v104, 0xb836, v29
	v_fma_f16 v105, v57, s15, v104
	v_mul_f16_e32 v106, 0x3b29, v30
	v_add_f16_sdwa v105, v28, v105 dst_sel:DWORD dst_unused:UNUSED_PAD src0_sel:WORD_1 src1_sel:DWORD
	v_fma_f16 v107, v58, s19, v106
	v_add_f16_e32 v105, v107, v105
	v_mul_f16_e32 v107, 0xbbf7, v33
	v_fma_f16 v108, v59, s7, v107
	v_add_f16_e32 v105, v108, v105
	v_mul_f16_e32 v108, 0x3a62, v35
	;; [unrolled: 3-line block ×6, first 2 shown]
	v_fma_f16 v113, v67, s10, v112
	v_add_f16_e32 v105, v113, v105
	v_mul_f16_sdwa v113, v29, s21 dst_sel:DWORD dst_unused:UNUSED_PAD src0_sel:WORD_1 src1_sel:DWORD
	v_fma_f16 v114, v31, s15, -v113
	v_mul_f16_sdwa v115, v30, s2 dst_sel:DWORD dst_unused:UNUSED_PAD src0_sel:WORD_1 src1_sel:DWORD
	v_add_f16_e32 v114, v28, v114
	v_fma_f16 v116, v32, s19, -v115
	v_add_f16_e32 v114, v116, v114
	v_mul_f16_sdwa v116, v33, s23 dst_sel:DWORD dst_unused:UNUSED_PAD src0_sel:WORD_1 src1_sel:DWORD
	v_fma_f16 v117, v36, s7, -v116
	v_add_f16_e32 v114, v117, v114
	v_mul_f16_sdwa v117, v35, s30 dst_sel:DWORD dst_unused:UNUSED_PAD src0_sel:WORD_1 src1_sel:DWORD
	v_fma_f16 v118, v37, s25, -v117
	v_fma_f16 v104, v57, s15, -v104
	v_add_f16_e32 v114, v118, v114
	v_mul_f16_sdwa v118, v38, s29 dst_sel:DWORD dst_unused:UNUSED_PAD src0_sel:WORD_1 src1_sel:DWORD
	v_add_f16_sdwa v104, v28, v104 dst_sel:DWORD dst_unused:UNUSED_PAD src0_sel:WORD_1 src1_sel:DWORD
	v_fma_f16 v106, v58, s19, -v106
	v_fma_f16 v113, v31, s15, v113
	v_fma_f16 v119, v40, s20, -v118
	v_add_f16_e32 v104, v106, v104
	v_fma_f16 v107, v59, s7, -v107
	v_add_f16_e32 v113, v28, v113
	v_fma_f16 v115, v32, s19, v115
	v_add_f16_e32 v114, v119, v114
	v_mul_f16_sdwa v119, v39, s11 dst_sel:DWORD dst_unused:UNUSED_PAD src0_sel:WORD_1 src1_sel:DWORD
	v_add_f16_e32 v104, v107, v104
	v_fma_f16 v108, v61, s25, -v108
	v_add_f16_e32 v113, v115, v113
	v_fma_f16 v116, v36, s7, v116
	v_fma_f16 v120, v41, s14, -v119
	v_add_f16_e32 v104, v108, v104
	v_fma_f16 v109, v62, s20, -v109
	v_add_f16_e32 v113, v116, v113
	v_fma_f16 v117, v37, s25, v117
	v_add_f16_e32 v114, v120, v114
	v_mul_f16_sdwa v120, v42, s16 dst_sel:DWORD dst_unused:UNUSED_PAD src0_sel:WORD_1 src1_sel:DWORD
	v_add_f16_e32 v104, v109, v104
	v_fma_f16 v110, v63, s14, -v110
	v_add_f16_e32 v113, v117, v113
	v_fma_f16 v118, v40, s20, v118
	v_fma_f16 v88, v57, s25, -v88
	v_fma_f16 v121, v44, s18, -v120
	v_mul_f16_e32 v107, 0xb461, v31
	v_add_f16_e32 v104, v110, v104
	v_fma_f16 v111, v65, s18, -v111
	v_add_f16_e32 v113, v118, v113
	v_fma_f16 v119, v41, s14, v119
	v_add_f16_sdwa v88, v28, v88 dst_sel:DWORD dst_unused:UNUSED_PAD src0_sel:WORD_1 src1_sel:DWORD
	v_fma_f16 v89, v58, s10, -v89
	v_fma_f16 v96, v31, s25, v96
	v_add_f16_e32 v114, v121, v114
	v_mul_f16_sdwa v121, v43, s6 dst_sel:DWORD dst_unused:UNUSED_PAD src0_sel:WORD_1 src1_sel:DWORD
	v_add_f16_e32 v104, v111, v104
	v_mul_f16_e32 v111, 0xbacd, v32
	v_add_f16_e32 v113, v119, v113
	v_fma_f16 v120, v44, s18, v120
	v_add_f16_e32 v88, v89, v88
	v_fma_f16 v90, v59, s20, -v90
	v_add_f16_e32 v96, v28, v96
	v_fma_f16 v97, v32, s10, v97
	v_add_f16_e32 v50, v107, v50
	v_fma_f16 v122, v45, s10, -v121
	v_mul_f16_e32 v117, 0x39e9, v36
	v_add_f16_e32 v113, v120, v113
	v_fma_f16 v121, v45, s10, v121
	v_add_f16_e32 v88, v90, v88
	v_fma_f16 v91, v61, s15, -v91
	v_add_f16_e32 v96, v97, v96
	v_fma_f16 v98, v36, s20, v98
	v_add_f16_e32 v50, v28, v50
	v_add_f16_e32 v53, v111, v53
	;; [unrolled: 1-line block ×3, first 2 shown]
	v_mul_f16_e32 v121, 0x3722, v37
	v_add_f16_e32 v88, v91, v88
	v_fma_f16 v92, v62, s7, -v92
	v_add_f16_e32 v96, v98, v96
	v_fma_f16 v99, v37, s15, v99
	v_add_f16_e32 v50, v53, v50
	v_add_f16_e32 v53, v117, v55
	;; [unrolled: 1-line block ×3, first 2 shown]
	v_mul_f16_e32 v122, 0x2de8, v31
	v_add_f16_e32 v88, v92, v88
	v_mul_f16_e32 v92, 0xbbdd, v40
	v_add_f16_e32 v96, v99, v96
	v_fma_f16 v100, v40, s7, v100
	v_add_f16_e32 v50, v53, v50
	v_add_f16_e32 v53, v121, v60
	v_mul_f16_e32 v109, 0xbbdd, v32
	v_fma_f16 v112, v67, s10, -v112
	v_mul_f16_e32 v97, 0x2de8, v41
	v_add_f16_e32 v96, v100, v96
	v_fma_f16 v101, v41, s18, v101
	v_add_f16_e32 v50, v53, v50
	v_add_f16_e32 v53, v92, v64
	;; [unrolled: 1-line block ×4, first 2 shown]
	v_mul_f16_e32 v112, 0x3836, v30
	v_mul_f16_e32 v115, 0xb461, v36
	v_add_f16_e32 v96, v101, v96
	v_mul_f16_e32 v101, 0x3b76, v44
	v_add_f16_e32 v50, v53, v50
	v_add_f16_e32 v53, v97, v69
	;; [unrolled: 1-line block ×4, first 2 shown]
	v_mul_f16_e32 v119, 0x3b76, v37
	v_fma_f16 v93, v63, s18, -v93
	v_sub_f16_e32 v81, v81, v112
	v_mul_f16_e32 v112, 0xb8d2, v45
	v_add_f16_e32 v50, v53, v50
	v_add_f16_e32 v53, v101, v70
	v_add_f16_e32 v47, v49, v47
	v_add_f16_e32 v49, v115, v51
	v_mul_f16_e32 v106, 0xbbf7, v29
	v_mul_f16_e32 v90, 0x3722, v40
	v_add_f16_e32 v88, v93, v88
	v_fma_f16 v94, v65, s14, -v94
	v_add_f16_e32 v50, v53, v50
	v_add_f16_e32 v53, v112, v71
	;; [unrolled: 1-line block ×4, first 2 shown]
	v_mul_f16_e32 v110, 0xb1e1, v30
	v_add_f16_e32 v88, v94, v88
	v_mul_f16_e32 v94, 0xbacd, v41
	v_fma_f16 v102, v44, s14, v102
	v_add_f16_e32 v50, v53, v50
	v_sub_f16_e32 v53, v72, v106
	v_add_f16_e32 v47, v49, v47
	v_add_f16_e32 v49, v90, v54
	v_mul_f16_e32 v116, 0x3bb2, v33
	v_mul_f16_e32 v99, 0xb8d2, v44
	v_add_f16_e32 v96, v102, v96
	v_fma_f16 v103, v45, s19, v103
	v_add_f16_sdwa v53, v28, v53 dst_sel:DWORD dst_unused:UNUSED_PAD src0_sel:WORD_1 src1_sel:DWORD
	v_sub_f16_e32 v55, v73, v110
	v_add_f16_e32 v47, v49, v47
	v_add_f16_e32 v49, v94, v56
	v_mul_f16_e32 v120, 0x35c8, v35
	v_add_f16_e32 v96, v103, v96
	v_mul_f16_e32 v103, 0x39e9, v45
	v_add_f16_e32 v53, v55, v53
	v_sub_f16_e32 v55, v74, v116
	v_add_f16_e32 v47, v49, v47
	v_add_f16_e32 v49, v99, v66
	v_mul_f16_e32 v91, 0xbb29, v38
	v_fma_f16 v95, v67, s19, -v95
	v_add_f16_e32 v53, v55, v53
	v_sub_f16_e32 v55, v75, v120
	v_add_f16_e32 v47, v49, v47
	v_add_f16_e32 v49, v103, v68
	;; [unrolled: 1-line block ×3, first 2 shown]
	v_mul_f16_e32 v95, 0xb836, v39
	v_add_f16_e32 v53, v55, v53
	v_sub_f16_e32 v55, v76, v91
	v_add_f16_e32 v47, v49, v47
	v_mul_f16_e32 v49, 0x3722, v57
	v_mul_f16_e32 v108, 0xbbb2, v29
	;; [unrolled: 1-line block ×3, first 2 shown]
	v_add_f16_e32 v53, v55, v53
	v_sub_f16_e32 v55, v77, v95
	v_fma_f16 v51, v29, s2, v49
	v_mul_f16_e32 v52, 0xb8d2, v58
	v_sub_f16_e32 v80, v80, v108
	v_mul_f16_e32 v108, 0x3964, v43
	v_add_f16_e32 v53, v55, v53
	v_sub_f16_e32 v55, v78, v100
	v_add_f16_sdwa v51, v28, v51 dst_sel:DWORD dst_unused:UNUSED_PAD src0_sel:WORD_1 src1_sel:DWORD
	v_fma_f16 v54, v30, s30, v52
	v_add_f16_e32 v53, v55, v53
	v_sub_f16_e32 v55, v79, v108
	v_add_f16_e32 v51, v54, v51
	v_mul_f16_e32 v54, 0xbbdd, v59
	v_add_f16_e32 v53, v55, v53
	v_fma_f16 v55, v33, s11, v54
	v_add_f16_e32 v51, v55, v51
	v_mul_f16_e32 v55, 0xb461, v61
	v_fma_f16 v56, v35, s6, v55
	v_add_f16_e32 v51, v56, v51
	v_mul_f16_e32 v56, 0x39e9, v62
	;; [unrolled: 3-line block ×5, first 2 shown]
	v_fma_f16 v68, v43, s24, v66
	v_add_f16_e32 v51, v68, v51
	v_mul_f16_sdwa v68, v29, s28 dst_sel:DWORD dst_unused:UNUSED_PAD src0_sel:WORD_1 src1_sel:DWORD
	v_fma_f16 v69, v31, s19, v68
	v_mul_f16_sdwa v70, v30, s27 dst_sel:DWORD dst_unused:UNUSED_PAD src0_sel:WORD_1 src1_sel:DWORD
	v_add_f16_e32 v69, v28, v69
	v_fma_f16 v71, v32, s25, v70
	s_movk_i32 s31, 0x31e1
	v_add_f16_e32 v69, v71, v69
	v_mul_f16_sdwa v71, v33, s31 dst_sel:DWORD dst_unused:UNUSED_PAD src0_sel:WORD_1 src1_sel:DWORD
	v_fma_f16 v72, v36, s14, v71
	v_add_f16_e32 v69, v72, v69
	v_mul_f16_sdwa v72, v35, s26 dst_sel:DWORD dst_unused:UNUSED_PAD src0_sel:WORD_1 src1_sel:DWORD
	v_fma_f16 v73, v37, s10, v72
	;; [unrolled: 3-line block ×6, first 2 shown]
	v_mul_f16_e32 v57, 0x39e9, v57
	v_add_f16_e32 v69, v77, v69
	v_fma_f16 v77, v29, s16, v57
	v_mul_f16_e32 v58, 0x2de8, v58
	v_add_f16_sdwa v77, v28, v77 dst_sel:DWORD dst_unused:UNUSED_PAD src0_sel:WORD_1 src1_sel:DWORD
	v_fma_f16 v78, v30, s22, v58
	v_mul_f16_e32 v59, 0xb8d2, v59
	v_mul_f16_e32 v118, 0x3964, v33
	v_add_f16_sdwa v80, v28, v80 dst_sel:DWORD dst_unused:UNUSED_PAD src0_sel:WORD_1 src1_sel:DWORD
	v_add_f16_e32 v77, v78, v77
	v_fma_f16 v78, v33, s30, v59
	v_mul_f16_e32 v61, 0xbbdd, v61
	v_mul_f16_e32 v89, 0xbb29, v35
	v_add_f16_e32 v80, v81, v80
	v_sub_f16_e32 v82, v82, v118
	v_add_f16_e32 v77, v78, v77
	v_fma_f16 v78, v35, s31, v61
	v_mul_f16_e32 v62, 0xbacd, v62
	v_pk_add_f16 v10, v28, v10
	v_mul_f16_e32 v93, 0xb1e1, v38
	v_add_f16_e32 v80, v82, v80
	v_sub_f16_e32 v82, v83, v89
	v_add_f16_e32 v77, v78, v77
	v_fma_f16 v78, v38, s21, v62
	v_mul_f16_e32 v63, 0xb461, v63
	v_pk_add_f16 v10, v10, v11
	v_mul_f16_e32 v98, 0x3bf7, v39
	v_add_f16_e32 v80, v82, v80
	v_sub_f16_e32 v82, v84, v93
	v_add_f16_e32 v77, v78, v77
	v_fma_f16 v78, v39, s6, v63
	v_mul_f16_e32 v65, 0x3722, v65
	v_pk_add_f16 v10, v10, v16
	v_mul_f16_e32 v102, 0xb5c8, v42
	v_add_f16_e32 v80, v82, v80
	v_sub_f16_e32 v82, v85, v98
	v_add_f16_e32 v77, v78, v77
	v_fma_f16 v78, v42, s28, v65
	v_mul_f16_e32 v67, 0x3b76, v67
	v_pk_add_f16 v10, v10, v17
	v_fma_f16 v11, v29, s28, v49
	v_mul_f16_e32 v81, 0xba62, v43
	v_add_f16_e32 v80, v82, v80
	v_sub_f16_e32 v82, v86, v102
	v_add_f16_e32 v77, v78, v77
	v_fma_f16 v78, v43, s29, v67
	v_pk_add_f16 v10, v10, v14
	v_add_f16_sdwa v11, v28, v11 dst_sel:DWORD dst_unused:UNUSED_PAD src0_sel:WORD_1 src1_sel:DWORD
	v_fma_f16 v14, v30, s27, v52
	v_add_f16_e32 v80, v82, v80
	v_sub_f16_e32 v81, v87, v81
	v_add_f16_e32 v77, v78, v77
	v_mul_f16_sdwa v78, v29, s3 dst_sel:DWORD dst_unused:UNUSED_PAD src0_sel:WORD_1 src1_sel:DWORD
	v_add_f16_e32 v11, v14, v11
	v_fma_f16 v14, v33, s31, v54
	v_add_f16_e32 v80, v81, v80
	v_fma_f16 v79, v31, s18, v78
	v_mul_f16_sdwa v81, v30, s23 dst_sel:DWORD dst_unused:UNUSED_PAD src0_sel:WORD_1 src1_sel:DWORD
	v_add_f16_e32 v11, v14, v11
	v_fma_f16 v14, v35, s26, v55
	v_add_f16_e32 v79, v28, v79
	v_fma_f16 v82, v32, s7, v81
	;; [unrolled: 2-line block ×3, first 2 shown]
	v_add_f16_e32 v79, v82, v79
	v_mul_f16_sdwa v82, v33, s27 dst_sel:DWORD dst_unused:UNUSED_PAD src0_sel:WORD_1 src1_sel:DWORD
	v_add_f16_e32 v11, v14, v11
	v_fma_f16 v14, v39, s29, v60
	v_fma_f16 v83, v36, s25, v82
	v_add_f16_e32 v11, v14, v11
	v_fma_f16 v14, v42, s23, v64
	v_add_f16_e32 v79, v83, v79
	v_mul_f16_sdwa v83, v35, s11 dst_sel:DWORD dst_unused:UNUSED_PAD src0_sel:WORD_1 src1_sel:DWORD
	v_add_f16_e32 v11, v14, v11
	v_fma_f16 v14, v43, s21, v66
	v_fma_f16 v84, v37, s14, v83
	v_add_f16_e32 v11, v14, v11
	v_fma_f16 v14, v31, s19, -v68
	v_pk_add_f16 v10, v10, v15
	v_add_f16_e32 v79, v84, v79
	v_mul_f16_sdwa v84, v38, s24 dst_sel:DWORD dst_unused:UNUSED_PAD src0_sel:WORD_1 src1_sel:DWORD
	v_add_f16_e32 v14, v28, v14
	v_fma_f16 v16, v32, s25, -v70
	v_pk_add_f16 v10, v10, v20
	v_fma_f16 v85, v40, s15, v84
	v_add_f16_e32 v14, v16, v14
	v_fma_f16 v16, v36, s14, -v71
	v_pk_add_f16 v10, v10, v21
	v_add_f16_e32 v79, v85, v79
	v_mul_f16_sdwa v85, v39, s26 dst_sel:DWORD dst_unused:UNUSED_PAD src0_sel:WORD_1 src1_sel:DWORD
	v_add_f16_e32 v14, v16, v14
	v_fma_f16 v16, v37, s10, -v72
	v_pk_add_f16 v10, v10, v18
	;; [unrolled: 9-line block ×4, first 2 shown]
	v_fma_f16 v89, v45, s20, v87
	v_add_f16_e32 v14, v16, v14
	v_fma_f16 v16, v29, s3, v57
	v_pk_add_f16 v8, v8, v9
	v_add_f16_e32 v79, v89, v79
	v_pk_mul_f16 v89, v29, s29 op_sel_hi:[1,0]
	v_add_f16_sdwa v16, v28, v16 dst_sel:DWORD dst_unused:UNUSED_PAD src0_sel:WORD_1 src1_sel:DWORD
	v_fma_f16 v17, v30, s23, v58
	v_pk_add_f16 v6, v8, v6
	v_pk_mul_f16 v90, v30, s3 op_sel_hi:[1,0]
	v_add_f16_e32 v16, v17, v16
	v_fma_f16 v17, v33, s27, v59
	v_pk_add_f16 v6, v6, v7
	v_pk_fma_f16 v7, v31, s20, v89 op_sel:[0,0,1] op_sel_hi:[1,0,0]
	v_pk_fma_f16 v8, v31, s20, v89 op_sel:[0,0,1] op_sel_hi:[1,0,0] neg_lo:[0,0,1] neg_hi:[0,0,1]
	s_mov_b32 s3, 0xffff
	v_add_f16_e32 v16, v17, v16
	v_fma_f16 v17, v35, s11, v61
	v_bfi_b32 v9, s3, v7, v8
	v_pk_fma_f16 v10, v32, s18, v90 op_sel:[0,0,1] op_sel_hi:[1,0,0]
	v_pk_fma_f16 v12, v32, s18, v90 op_sel:[0,0,1] op_sel_hi:[1,0,0] neg_lo:[0,0,1] neg_hi:[0,0,1]
	v_pk_mul_f16 v91, v33, s28 op_sel_hi:[1,0]
	v_add_f16_e32 v16, v17, v16
	v_fma_f16 v17, v38, s24, v62
	v_pk_add_f16 v9, v28, v9
	v_bfi_b32 v13, s3, v10, v12
	v_add_f16_e32 v16, v17, v16
	v_fma_f16 v17, v39, s26, v63
	v_pk_add_f16 v9, v13, v9
	v_pk_fma_f16 v13, v36, s19, v91 op_sel:[0,0,1] op_sel_hi:[1,0,0]
	v_pk_fma_f16 v15, v36, s19, v91 op_sel:[0,0,1] op_sel_hi:[1,0,0] neg_lo:[0,0,1] neg_hi:[0,0,1]
	v_pk_mul_f16 v92, v35, s23 op_sel_hi:[1,0]
	v_add_f16_e32 v16, v17, v16
	v_fma_f16 v17, v42, s2, v65
	v_bfi_b32 v18, s3, v13, v15
	v_add_f16_e32 v16, v17, v16
	v_fma_f16 v17, v43, s17, v67
	v_pk_add_f16 v9, v18, v9
	v_pk_fma_f16 v18, v37, s7, v92 op_sel:[0,0,1] op_sel_hi:[1,0,0]
	v_pk_fma_f16 v19, v37, s7, v92 op_sel:[0,0,1] op_sel_hi:[1,0,0] neg_lo:[0,0,1] neg_hi:[0,0,1]
	v_pk_mul_f16 v93, v38, s6 op_sel_hi:[1,0]
	v_add_f16_e32 v16, v17, v16
	v_fma_f16 v17, v31, s18, -v78
	v_bfi_b32 v20, s3, v18, v19
	v_add_f16_e32 v17, v28, v17
	v_fma_f16 v49, v32, s7, -v81
	v_pk_add_f16 v9, v20, v9
	v_pk_fma_f16 v20, v40, s10, v93 op_sel:[0,0,1] op_sel_hi:[1,0,0]
	v_pk_fma_f16 v21, v40, s10, v93 op_sel:[0,0,1] op_sel_hi:[1,0,0] neg_lo:[0,0,1] neg_hi:[0,0,1]
	v_pk_mul_f16 v94, v39, s27 op_sel_hi:[1,0]
	v_add_f16_e32 v17, v49, v17
	v_fma_f16 v49, v36, s25, -v82
	v_bfi_b32 v52, s3, v20, v21
	v_add_f16_e32 v17, v49, v17
	v_fma_f16 v49, v37, s14, -v83
	;; [unrolled: 9-line block ×4, first 2 shown]
	v_pk_add_f16 v9, v57, v9
	v_pk_fma_f16 v57, v45, s14, v97 op_sel:[0,0,1] op_sel_hi:[1,0,0]
	v_pk_fma_f16 v58, v45, s14, v97 op_sel:[0,0,1] op_sel_hi:[1,0,0] neg_lo:[0,0,1] neg_hi:[0,0,1]
	v_add_f16_e32 v17, v49, v17
	v_mul_u32_u24_e32 v49, 0x44, v0
	v_bfi_b32 v59, s3, v57, v58
	v_add3_u32 v49, 0, v49, v24
	v_pk_add_f16 v9, v59, v9
	ds_write2_b32 v49, v6, v9 offset1:1
	v_pack_b32_f16 v6, v69, v51
	v_pack_b32_f16 v9, v79, v77
	ds_write2_b32 v49, v9, v6 offset0:2 offset1:3
	v_pack_b32_f16 v6, v50, v80
	v_pack_b32_f16 v9, v47, v53
	ds_write2_b32 v49, v9, v6 offset0:4 offset1:5
	v_pack_b32_f16 v6, v113, v104
	v_pack_b32_f16 v9, v96, v88
	ds_write2_b32 v49, v9, v6 offset0:6 offset1:7
	v_pk_mul_f16 v6, v31, s14 op_sel_hi:[1,0]
	v_pk_fma_f16 v9, v29, s11, v6 op_sel:[0,0,1] op_sel_hi:[1,0,0]
	v_pk_mul_f16 v32, v32, s20 op_sel_hi:[1,0]
	v_pk_fma_f16 v6, v29, s11, v6 op_sel:[0,0,1] op_sel_hi:[1,0,0] neg_lo:[1,0,0] neg_hi:[1,0,0]
	v_pk_mul_f16 v36, v36, s15 op_sel_hi:[1,0]
	v_pk_add_f16 v6, v28, v6 op_sel:[1,0] op_sel_hi:[0,1]
	v_pk_fma_f16 v29, v30, s17, v32 op_sel:[0,0,1] op_sel_hi:[1,0,0] neg_lo:[1,0,0] neg_hi:[1,0,0]
	v_pk_mul_f16 v37, v37, s18 op_sel_hi:[1,0]
	v_pk_add_f16 v6, v29, v6
	v_pk_fma_f16 v29, v33, s21, v36 op_sel:[0,0,1] op_sel_hi:[1,0,0] neg_lo:[1,0,0] neg_hi:[1,0,0]
	v_pk_mul_f16 v40, v40, s25 op_sel_hi:[1,0]
	v_pk_add_f16 v6, v29, v6
	;; [unrolled: 3-line block ×4, first 2 shown]
	v_pk_fma_f16 v29, v39, s2, v41 op_sel:[0,0,1] op_sel_hi:[1,0,0] neg_lo:[1,0,0] neg_hi:[1,0,0]
	v_alignbit_b32 v31, s0, v28, 16
	v_pk_mul_f16 v45, v45, s7 op_sel_hi:[1,0]
	v_pk_add_f16 v6, v29, v6
	v_pk_fma_f16 v29, v42, s6, v44 op_sel:[0,0,1] op_sel_hi:[1,0,0] neg_lo:[1,0,0] neg_hi:[1,0,0]
	v_pk_add_f16 v31, v31, v9
	v_pk_fma_f16 v47, v30, s17, v32 op_sel:[0,0,1] op_sel_hi:[1,0,0]
	v_pk_add_f16 v6, v29, v6
	v_pk_fma_f16 v29, v43, s22, v45 op_sel:[0,0,1] op_sel_hi:[1,0,0] neg_lo:[1,0,0] neg_hi:[1,0,0]
	v_alignbit_b32 v9, s0, v9, 16
	v_pk_fma_f16 v50, v33, s21, v36 op_sel:[0,0,1] op_sel_hi:[1,0,0]
	v_pk_add_f16 v6, v29, v6
	v_pk_add_f16 v9, v28, v9
	v_alignbit_b32 v29, s0, v47, 16
	v_pk_add_f16 v31, v47, v31
	v_pk_fma_f16 v51, v35, s16, v37 op_sel:[0,0,1] op_sel_hi:[1,0,0]
	v_pk_add_f16 v9, v29, v9
	v_alignbit_b32 v29, s0, v50, 16
	v_pk_add_f16 v31, v50, v31
	v_pk_fma_f16 v53, v38, s27, v40 op_sel:[0,0,1] op_sel_hi:[1,0,0]
	;; [unrolled: 4-line block ×5, first 2 shown]
	v_pk_add_f16 v9, v29, v9
	v_alignbit_b32 v29, s0, v60, 16
	v_pk_add_f16 v31, v60, v31
	v_pk_add_f16 v9, v29, v9
	v_alignbit_b32 v29, s0, v61, 16
	v_pk_add_f16 v31, v61, v31
	v_pk_add_f16 v9, v29, v9
	v_alignbit_b32 v29, v31, v6, 16
	v_pack_b32_f16 v6, v9, v6
	ds_write2_b32 v49, v6, v29 offset0:8 offset1:9
	v_pack_b32_f16 v6, v48, v46
	v_pack_b32_f16 v9, v114, v105
	s_mov_b32 s2, 0x5040100
	ds_write2_b32 v49, v9, v6 offset0:10 offset1:11
	v_perm_b32 v6, v27, v5, s2
	v_perm_b32 v9, v26, v4, s2
	ds_write2_b32 v49, v9, v6 offset0:12 offset1:13
	v_pack_b32_f16 v6, v17, v16
	v_pack_b32_f16 v9, v14, v11
	ds_write2_b32 v49, v9, v6 offset0:14 offset1:15
	v_bfi_b32 v6, s3, v8, v7
	v_pk_add_f16 v6, v28, v6
	v_bfi_b32 v7, s3, v12, v10
	v_pk_add_f16 v6, v7, v6
	;; [unrolled: 2-line block ×8, first 2 shown]
	ds_write_b32 v49, v6 offset:64
.LBB0_20:
	s_or_b64 exec, exec, s[4:5]
	s_waitcnt lgkmcnt(0)
	s_barrier
	ds_read2_b32 v[6:7], v1 offset0:170 offset1:221
	ds_read2_b32 v[8:9], v1 offset0:34 offset1:68
	;; [unrolled: 1-line block ×5, first 2 shown]
	ds_read_b32 v16, v23
	ds_read_b32 v17, v1 offset:1564
	s_and_saveexec_b64 s[2:3], s[0:1]
	s_cbranch_execz .LBB0_22
; %bb.21:
	v_add_u32_e32 v4, 0x300, v1
	ds_read2_b32 v[4:5], v4 offset0:12 offset1:233
	s_waitcnt lgkmcnt(0)
	v_lshrrev_b32_e32 v26, 16, v4
	v_lshrrev_b32_e32 v27, 16, v5
.LBB0_22:
	s_or_b64 exec, exec, s[2:3]
	v_add_u16_e32 v18, 34, v0
	s_movk_i32 s4, 0xf1
	v_mul_lo_u16_sdwa v19, v18, s4 dst_sel:DWORD dst_unused:UNUSED_PAD src0_sel:BYTE_0 src1_sel:DWORD
	v_lshrrev_b16_e32 v25, 12, v19
	v_mul_lo_u16_e32 v19, 17, v25
	v_sub_u16_e32 v19, v18, v19
	v_add_u16_e32 v18, 0x44, v0
	v_mul_lo_u16_sdwa v20, v18, s4 dst_sel:DWORD dst_unused:UNUSED_PAD src0_sel:BYTE_0 src1_sel:DWORD
	v_lshrrev_b16_e32 v28, 12, v20
	v_mul_lo_u16_e32 v20, 17, v28
	v_sub_u16_e32 v20, v18, v20
	v_add_u16_e32 v18, 0x66, v0
	;; [unrolled: 5-line block ×4, first 2 shown]
	v_mul_lo_u16_sdwa v32, v18, s4 dst_sel:DWORD dst_unused:UNUSED_PAD src0_sel:BYTE_0 src1_sel:DWORD
	v_lshrrev_b16_e32 v32, 12, v32
	v_mul_lo_u16_e32 v33, 17, v32
	v_sub_u16_e32 v33, v18, v33
	v_mov_b32_e32 v18, 2
	v_lshlrev_b32_sdwa v34, v18, v19 dst_sel:DWORD dst_unused:UNUSED_PAD src0_sel:DWORD src1_sel:BYTE_0
	v_subrev_u32_e32 v19, 17, v0
	v_lshlrev_b32_sdwa v35, v18, v20 dst_sel:DWORD dst_unused:UNUSED_PAD src0_sel:DWORD src1_sel:BYTE_0
	v_cndmask_b32_e64 v19, v19, v0, s[0:1]
	v_mov_b32_e32 v20, 0
	v_lshlrev_b32_sdwa v36, v18, v21 dst_sel:DWORD dst_unused:UNUSED_PAD src0_sel:DWORD src1_sel:BYTE_0
	v_lshlrev_b64 v[20:21], 2, v[19:20]
	v_mov_b32_e32 v42, s9
	v_add_co_u32_e64 v20, s[2:3], s8, v20
	v_lshlrev_b32_sdwa v33, v18, v33 dst_sel:DWORD dst_unused:UNUSED_PAD src0_sel:DWORD src1_sel:BYTE_0
	v_addc_co_u32_e64 v21, s[2:3], v42, v21, s[2:3]
	v_lshlrev_b32_sdwa v31, v18, v31 dst_sel:DWORD dst_unused:UNUSED_PAD src0_sel:DWORD src1_sel:BYTE_0
	global_load_dword v37, v33, s[8:9]
	global_load_dword v38, v31, s[8:9]
	;; [unrolled: 1-line block ×5, first 2 shown]
	v_cmp_lt_u32_e64 s[2:3], 16, v0
	global_load_dword v20, v[20:21], off
	v_mov_b32_e32 v21, 0x88
	v_cndmask_b32_e64 v21, 0, v21, s[2:3]
	s_movk_i32 s5, 0x88
	v_add_u32_e32 v21, 0, v21
	v_lshlrev_b32_e32 v19, 2, v19
	v_add3_u32 v19, v21, v19, v24
	v_mad_u32_u24 v21, v25, s5, 0
	v_mad_u32_u24 v25, v28, s5, 0
	;; [unrolled: 1-line block ×5, first 2 shown]
	v_add3_u32 v29, v29, v31, v24
	s_mov_b32 s6, 0xffff
	v_add3_u32 v28, v28, v36, v24
	v_add3_u32 v30, v30, v33, v24
	;; [unrolled: 1-line block ×4, first 2 shown]
	s_waitcnt vmcnt(0) lgkmcnt(0)
	s_barrier
	v_pk_mul_f16 v31, v37, v17 op_sel:[0,1]
	v_pk_mul_f16 v32, v38, v15 op_sel:[0,1]
	;; [unrolled: 1-line block ×3, first 2 shown]
	v_pk_fma_f16 v36, v37, v17, v31 op_sel:[0,0,1] op_sel_hi:[1,1,0]
	v_pk_fma_f16 v17, v37, v17, v31 op_sel:[0,0,1] op_sel_hi:[1,0,0] neg_lo:[1,0,0] neg_hi:[1,0,0]
	v_pk_fma_f16 v31, v38, v15, v32 op_sel:[0,0,1] op_sel_hi:[1,1,0]
	v_pk_fma_f16 v15, v38, v15, v32 op_sel:[0,0,1] op_sel_hi:[1,0,0] neg_lo:[1,0,0] neg_hi:[1,0,0]
	;; [unrolled: 2-line block ×3, first 2 shown]
	v_bfi_b32 v15, s6, v31, v15
	v_pk_mul_f16 v31, v20, v7 op_sel:[0,1]
	v_pk_mul_f16 v34, v40, v11 op_sel:[0,1]
	;; [unrolled: 1-line block ×3, first 2 shown]
	v_bfi_b32 v14, s6, v32, v14
	v_pk_fma_f16 v32, v20, v7, v31 op_sel:[0,0,1] op_sel_hi:[1,1,0]
	v_pk_fma_f16 v7, v20, v7, v31 op_sel:[0,0,1] op_sel_hi:[1,0,0] neg_lo:[1,0,0] neg_hi:[1,0,0]
	v_pk_fma_f16 v33, v40, v11, v34 op_sel:[0,0,1] op_sel_hi:[1,1,0]
	v_pk_fma_f16 v11, v40, v11, v34 op_sel:[0,0,1] op_sel_hi:[1,0,0] neg_lo:[1,0,0] neg_hi:[1,0,0]
	;; [unrolled: 2-line block ×3, first 2 shown]
	v_bfi_b32 v7, s6, v32, v7
	v_bfi_b32 v17, s6, v36, v17
	;; [unrolled: 1-line block ×4, first 2 shown]
	v_pk_add_f16 v7, v16, v7 neg_lo:[0,1] neg_hi:[0,1]
	v_pk_add_f16 v17, v6, v17 neg_lo:[0,1] neg_hi:[0,1]
	;; [unrolled: 1-line block ×6, first 2 shown]
	v_pk_fma_f16 v16, v16, 2.0, v7 op_sel_hi:[1,0,1] neg_lo:[0,0,1] neg_hi:[0,0,1]
	v_pk_fma_f16 v6, v6, 2.0, v17 op_sel_hi:[1,0,1] neg_lo:[0,0,1] neg_hi:[0,0,1]
	;; [unrolled: 1-line block ×6, first 2 shown]
	ds_write2_b32 v19, v16, v7 offset1:17
	ds_write2_b32 v21, v8, v10 offset1:17
	;; [unrolled: 1-line block ×6, first 2 shown]
	s_and_saveexec_b64 s[2:3], s[0:1]
	s_cbranch_execz .LBB0_24
; %bb.23:
	v_add_u16_e32 v6, 0xcc, v0
	v_mul_lo_u16_sdwa v7, v6, s4 dst_sel:DWORD dst_unused:UNUSED_PAD src0_sel:BYTE_0 src1_sel:DWORD
	v_lshrrev_b16_e32 v7, 12, v7
	v_mul_lo_u16_e32 v7, 17, v7
	v_sub_u16_e32 v6, v6, v7
	v_lshlrev_b32_sdwa v6, v18, v6 dst_sel:DWORD dst_unused:UNUSED_PAD src0_sel:DWORD src1_sel:BYTE_0
	global_load_dword v7, v6, s[8:9]
	v_add3_u32 v6, 0, v6, v24
	v_add_u32_e32 v6, 0x400, v6
	s_waitcnt vmcnt(0)
	v_mul_f16_sdwa v8, v27, v7 dst_sel:DWORD dst_unused:UNUSED_PAD src0_sel:DWORD src1_sel:WORD_1
	v_mul_f16_sdwa v9, v5, v7 dst_sel:DWORD dst_unused:UNUSED_PAD src0_sel:DWORD src1_sel:WORD_1
	v_fma_f16 v5, v5, v7, v8
	v_fma_f16 v7, v27, v7, -v9
	v_sub_f16_e32 v5, v4, v5
	v_sub_f16_e32 v7, v26, v7
	v_fma_f16 v4, v4, 2.0, -v5
	v_fma_f16 v8, v26, 2.0, -v7
	v_pack_b32_f16 v5, v5, v7
	v_pack_b32_f16 v4, v4, v8
	ds_write2_b32 v6, v4, v5 offset0:152 offset1:169
.LBB0_24:
	s_or_b64 exec, exec, s[2:3]
	v_mul_u32_u24_e32 v4, 12, v0
	v_lshlrev_b32_e32 v4, 2, v4
	s_waitcnt lgkmcnt(0)
	s_barrier
	global_load_dwordx4 v[5:8], v4, s[8:9] offset:68
	global_load_dwordx4 v[9:12], v4, s[8:9] offset:84
	;; [unrolled: 1-line block ×3, first 2 shown]
	ds_read_b32 v21, v23
	ds_read2_b32 v[17:18], v1 offset0:34 offset1:68
	ds_read2_b32 v[19:20], v1 offset0:102 offset1:136
	;; [unrolled: 1-line block ×3, first 2 shown]
	v_add_u32_e32 v25, 0x200, v1
	v_add_u32_e32 v4, 0x400, v1
	s_waitcnt lgkmcnt(2)
	v_lshrrev_b32_e32 v33, 16, v17
	v_lshrrev_b32_e32 v34, 16, v18
	s_waitcnt lgkmcnt(0)
	v_lshrrev_b32_e32 v32, 16, v24
	v_lshrrev_b32_e32 v31, 16, v23
	;; [unrolled: 1-line block ×3, first 2 shown]
	ds_read2_b32 v[25:26], v25 offset0:110 offset1:144
	ds_read2_b32 v[27:28], v4 offset0:50 offset1:84
	;; [unrolled: 1-line block ×3, first 2 shown]
	v_lshrrev_b32_e32 v36, 16, v20
	s_mov_b32 s6, 0xb770
	s_waitcnt lgkmcnt(2)
	v_lshrrev_b32_e32 v37, 16, v25
	v_lshrrev_b32_e32 v38, 16, v26
	s_waitcnt lgkmcnt(1)
	v_lshrrev_b32_e32 v39, 16, v27
	v_lshrrev_b32_e32 v40, 16, v28
	s_waitcnt lgkmcnt(0)
	v_lshrrev_b32_e32 v41, 16, v29
	v_lshrrev_b32_e32 v42, 16, v30
	s_movk_i32 s7, 0x3b15
	s_movk_i32 s8, 0x3770
	s_mov_b32 s3, 0xba95
	s_movk_i32 s4, 0x388b
	s_movk_i32 s5, 0x3a95
	s_mov_b32 s0, 0xbbf1
	;; [unrolled: 3-line block ×3, first 2 shown]
	s_mov_b32 s10, 0xb5ac
	s_movk_i32 s11, 0x3b7b
	s_mov_b32 s14, 0xb94e
	s_mov_b32 s15, 0xb9fd
	s_movk_i32 s16, 0x394e
	s_mov_b32 s17, 0xb3a8
	s_mov_b32 s18, 0xbbc4
	s_movk_i32 s19, 0x33a8
	s_waitcnt vmcnt(0)
	s_barrier
	v_mul_f16_sdwa v43, v5, v33 dst_sel:DWORD dst_unused:UNUSED_PAD src0_sel:WORD_1 src1_sel:DWORD
	v_mul_f16_sdwa v44, v5, v17 dst_sel:DWORD dst_unused:UNUSED_PAD src0_sel:WORD_1 src1_sel:DWORD
	;; [unrolled: 1-line block ×4, first 2 shown]
	v_mul_f16_sdwa v53, v32, v10 dst_sel:DWORD dst_unused:UNUSED_PAD src0_sel:DWORD src1_sel:WORD_1
	v_mul_f16_sdwa v54, v24, v10 dst_sel:DWORD dst_unused:UNUSED_PAD src0_sel:DWORD src1_sel:WORD_1
	v_fma_f16 v17, v5, v17, v43
	v_fma_f16 v5, v5, v33, -v44
	v_mul_f16_sdwa v47, v7, v35 dst_sel:DWORD dst_unused:UNUSED_PAD src0_sel:WORD_1 src1_sel:DWORD
	v_mul_f16_sdwa v48, v7, v19 dst_sel:DWORD dst_unused:UNUSED_PAD src0_sel:WORD_1 src1_sel:DWORD
	v_mul_f16_sdwa v51, v31, v9 dst_sel:DWORD dst_unused:UNUSED_PAD src0_sel:DWORD src1_sel:WORD_1
	v_mul_f16_sdwa v52, v23, v9 dst_sel:DWORD dst_unused:UNUSED_PAD src0_sel:DWORD src1_sel:WORD_1
	v_fma_f16 v18, v6, v18, v45
	v_fma_f16 v6, v6, v34, -v46
	v_fma_f16 v24, v24, v10, v53
	v_fma_f16 v10, v32, v10, -v54
	v_add_f16_sdwa v32, v5, v21 dst_sel:DWORD dst_unused:UNUSED_PAD src0_sel:DWORD src1_sel:WORD_1
	v_mul_f16_sdwa v49, v8, v36 dst_sel:DWORD dst_unused:UNUSED_PAD src0_sel:WORD_1 src1_sel:DWORD
	v_mul_f16_sdwa v50, v8, v20 dst_sel:DWORD dst_unused:UNUSED_PAD src0_sel:WORD_1 src1_sel:DWORD
	v_fma_f16 v19, v7, v19, v47
	v_fma_f16 v7, v7, v35, -v48
	v_fma_f16 v23, v23, v9, v51
	v_fma_f16 v9, v31, v9, -v52
	v_add_f16_e32 v31, v17, v21
	v_add_f16_e32 v32, v32, v6
	v_fma_f16 v20, v8, v20, v49
	v_fma_f16 v8, v8, v36, -v50
	v_add_f16_e32 v31, v31, v18
	v_add_f16_e32 v32, v32, v7
	;; [unrolled: 1-line block ×4, first 2 shown]
	v_mul_f16_sdwa v55, v37, v11 dst_sel:DWORD dst_unused:UNUSED_PAD src0_sel:DWORD src1_sel:WORD_1
	v_mul_f16_sdwa v56, v25, v11 dst_sel:DWORD dst_unused:UNUSED_PAD src0_sel:DWORD src1_sel:WORD_1
	v_add_f16_e32 v31, v31, v20
	v_add_f16_e32 v32, v32, v9
	v_mul_f16_sdwa v57, v38, v12 dst_sel:DWORD dst_unused:UNUSED_PAD src0_sel:DWORD src1_sel:WORD_1
	v_mul_f16_sdwa v58, v26, v12 dst_sel:DWORD dst_unused:UNUSED_PAD src0_sel:DWORD src1_sel:WORD_1
	v_fma_f16 v25, v25, v11, v55
	v_fma_f16 v11, v37, v11, -v56
	v_add_f16_e32 v31, v31, v23
	v_add_f16_e32 v32, v32, v10
	v_mul_f16_sdwa v59, v39, v13 dst_sel:DWORD dst_unused:UNUSED_PAD src0_sel:DWORD src1_sel:WORD_1
	v_mul_f16_sdwa v60, v27, v13 dst_sel:DWORD dst_unused:UNUSED_PAD src0_sel:DWORD src1_sel:WORD_1
	v_fma_f16 v26, v26, v12, v57
	v_fma_f16 v12, v38, v12, -v58
	v_add_f16_e32 v31, v31, v24
	v_add_f16_e32 v32, v32, v11
	v_mul_f16_sdwa v61, v40, v14 dst_sel:DWORD dst_unused:UNUSED_PAD src0_sel:DWORD src1_sel:WORD_1
	v_mul_f16_sdwa v62, v28, v14 dst_sel:DWORD dst_unused:UNUSED_PAD src0_sel:DWORD src1_sel:WORD_1
	v_fma_f16 v27, v27, v13, v59
	v_fma_f16 v13, v39, v13, -v60
	v_add_f16_e32 v31, v31, v25
	v_add_f16_e32 v32, v32, v12
	v_mul_f16_sdwa v63, v41, v15 dst_sel:DWORD dst_unused:UNUSED_PAD src0_sel:DWORD src1_sel:WORD_1
	v_mul_f16_sdwa v64, v29, v15 dst_sel:DWORD dst_unused:UNUSED_PAD src0_sel:DWORD src1_sel:WORD_1
	;; [unrolled: 1-line block ×4, first 2 shown]
	v_fma_f16 v28, v28, v14, v61
	v_fma_f16 v14, v40, v14, -v62
	v_add_f16_e32 v31, v31, v26
	v_add_f16_e32 v32, v32, v13
	v_fma_f16 v29, v29, v15, v63
	v_fma_f16 v15, v41, v15, -v64
	v_fma_f16 v30, v30, v16, v65
	v_fma_f16 v16, v42, v16, -v66
	v_add_f16_e32 v31, v31, v27
	v_add_f16_e32 v32, v32, v14
	;; [unrolled: 1-line block ×5, first 2 shown]
	v_sub_f16_e32 v5, v5, v16
	v_add_f16_e32 v31, v31, v29
	v_add_f16_e32 v32, v32, v16
	;; [unrolled: 1-line block ×3, first 2 shown]
	v_sub_f16_e32 v17, v17, v30
	v_mul_f16_e32 v16, 0xb770, v5
	v_mul_f16_e32 v35, 0x3b15, v34
	;; [unrolled: 1-line block ×12, first 2 shown]
	v_add_f16_e32 v31, v31, v30
	v_fma_f16 v30, v33, s7, v16
	v_fma_f16 v36, v17, s8, v35
	v_fma_f16 v16, v33, s7, -v16
	v_fma_f16 v35, v17, s6, v35
	v_fma_f16 v38, v33, s4, v37
	v_fma_f16 v40, v17, s5, v39
	v_fma_f16 v37, v33, s4, -v37
	v_fma_f16 v39, v17, s3, v39
	;; [unrolled: 4-line block ×6, first 2 shown]
	v_add_f16_e32 v33, v6, v15
	v_sub_f16_e32 v6, v6, v15
	v_add_f16_e32 v30, v30, v21
	v_add_f16_sdwa v36, v36, v21 dst_sel:DWORD dst_unused:UNUSED_PAD src0_sel:DWORD src1_sel:WORD_1
	v_add_f16_e32 v16, v16, v21
	v_add_f16_sdwa v35, v35, v21 dst_sel:DWORD dst_unused:UNUSED_PAD src0_sel:DWORD src1_sel:WORD_1
	;; [unrolled: 2-line block ×12, first 2 shown]
	v_add_f16_e32 v21, v18, v29
	v_mul_f16_e32 v15, 0xba95, v6
	v_sub_f16_e32 v18, v18, v29
	v_fma_f16 v29, v21, s4, v15
	v_add_f16_e32 v29, v29, v30
	v_mul_f16_e32 v30, 0x388b, v33
	v_fma_f16 v15, v21, s4, -v15
	v_fma_f16 v34, v18, s5, v30
	v_add_f16_e32 v15, v15, v16
	v_fma_f16 v16, v18, s3, v30
	v_mul_f16_e32 v30, 0xbb7b, v6
	v_add_f16_e32 v34, v34, v36
	v_add_f16_e32 v16, v16, v35
	v_fma_f16 v35, v21, s10, v30
	v_mul_f16_e32 v36, 0xb5ac, v33
	v_fma_f16 v30, v21, s10, -v30
	v_add_f16_e32 v35, v35, v38
	v_fma_f16 v38, v18, s11, v36
	v_add_f16_e32 v30, v30, v37
	v_fma_f16 v36, v18, s9, v36
	v_mul_f16_e32 v37, 0xb3a8, v6
	v_add_f16_e32 v38, v38, v40
	v_add_f16_e32 v36, v36, v39
	v_fma_f16 v39, v21, s18, v37
	v_mul_f16_e32 v40, 0xbbc4, v33
	v_fma_f16 v37, v21, s18, -v37
	v_add_f16_e32 v39, v39, v42
	;; [unrolled: 10-line block ×3, first 2 shown]
	v_fma_f16 v46, v18, s14, v44
	v_add_f16_e32 v41, v41, v45
	v_fma_f16 v44, v18, s16, v44
	v_mul_f16_e32 v45, 0x3bf1, v6
	v_add_f16_e32 v46, v46, v48
	v_add_f16_e32 v44, v44, v47
	v_fma_f16 v47, v21, s1, v45
	v_mul_f16_e32 v48, 0x2fb7, v33
	v_fma_f16 v45, v21, s1, -v45
	v_mul_f16_e32 v6, 0x3770, v6
	v_add_f16_e32 v47, v47, v50
	v_fma_f16 v50, v18, s0, v48
	v_add_f16_e32 v45, v45, v49
	v_fma_f16 v48, v18, s2, v48
	v_fma_f16 v49, v21, s7, v6
	v_mul_f16_e32 v33, 0x3b15, v33
	v_fma_f16 v6, v21, s7, -v6
	v_add_f16_e32 v48, v48, v51
	v_fma_f16 v51, v18, s6, v33
	v_add_f16_e32 v5, v6, v5
	v_fma_f16 v6, v18, s8, v33
	v_add_f16_e32 v18, v7, v14
	v_sub_f16_e32 v7, v7, v14
	v_add_f16_e32 v6, v6, v17
	v_add_f16_e32 v17, v19, v28
	v_mul_f16_e32 v14, 0xbbf1, v7
	v_sub_f16_e32 v19, v19, v28
	v_fma_f16 v21, v17, s1, v14
	v_mul_f16_e32 v28, 0x2fb7, v18
	v_fma_f16 v14, v17, s1, -v14
	v_add_f16_e32 v14, v14, v15
	v_fma_f16 v15, v19, s0, v28
	v_add_f16_e32 v15, v15, v16
	v_mul_f16_e32 v16, 0xb3a8, v7
	v_add_f16_e32 v21, v21, v29
	v_fma_f16 v29, v19, s2, v28
	v_fma_f16 v28, v17, s18, v16
	v_mul_f16_e32 v33, 0xbbc4, v18
	v_fma_f16 v16, v17, s18, -v16
	v_add_f16_e32 v29, v29, v34
	v_fma_f16 v34, v19, s19, v33
	v_add_f16_e32 v16, v16, v30
	v_fma_f16 v30, v19, s17, v33
	v_mul_f16_e32 v33, 0x3b7b, v7
	v_add_f16_e32 v28, v28, v35
	v_fma_f16 v35, v17, s10, v33
	v_fma_f16 v33, v17, s10, -v33
	v_add_f16_e32 v30, v30, v36
	v_mul_f16_e32 v36, 0xb5ac, v18
	v_add_f16_e32 v33, v33, v37
	v_mul_f16_e32 v37, 0x3770, v7
	v_add_f16_e32 v34, v34, v38
	v_add_f16_e32 v35, v35, v39
	v_fma_f16 v38, v19, s9, v36
	v_fma_f16 v36, v19, s11, v36
	v_fma_f16 v39, v17, s7, v37
	v_fma_f16 v37, v17, s7, -v37
	v_add_f16_e32 v36, v36, v40
	v_mul_f16_e32 v40, 0x3b15, v18
	v_add_f16_e32 v37, v37, v41
	v_mul_f16_e32 v41, 0xba95, v7
	v_add_f16_e32 v38, v38, v42
	v_add_f16_e32 v39, v39, v43
	v_fma_f16 v42, v19, s6, v40
	v_fma_f16 v40, v19, s8, v40
	;; [unrolled: 1-line block ×3, first 2 shown]
	v_fma_f16 v41, v17, s4, -v41
	v_mul_f16_e32 v7, 0xb94e, v7
	v_add_f16_e32 v40, v40, v44
	v_mul_f16_e32 v44, 0x388b, v18
	v_add_f16_e32 v41, v41, v45
	v_fma_f16 v45, v17, s15, v7
	v_mul_f16_e32 v18, 0xb9fd, v18
	v_fma_f16 v7, v17, s15, -v7
	v_add_f16_e32 v5, v7, v5
	v_fma_f16 v7, v19, s14, v18
	v_add_f16_e32 v17, v8, v13
	v_sub_f16_e32 v8, v8, v13
	v_add_f16_e32 v6, v7, v6
	v_add_f16_e32 v7, v20, v27
	v_mul_f16_e32 v13, 0xbb7b, v8
	v_add_f16_e32 v42, v42, v46
	v_add_f16_e32 v43, v43, v47
	v_fma_f16 v46, v19, s5, v44
	v_fma_f16 v44, v19, s3, v44
	;; [unrolled: 1-line block ×3, first 2 shown]
	v_sub_f16_e32 v18, v20, v27
	v_fma_f16 v19, v7, s10, v13
	v_mul_f16_e32 v20, 0xb5ac, v17
	v_fma_f16 v13, v7, s10, -v13
	v_add_f16_e32 v13, v13, v14
	v_fma_f16 v14, v18, s9, v20
	v_add_f16_e32 v14, v14, v15
	v_mul_f16_e32 v15, 0x394e, v8
	v_add_f16_e32 v19, v19, v21
	v_fma_f16 v21, v18, s11, v20
	v_fma_f16 v20, v7, s15, v15
	v_mul_f16_e32 v27, 0xb9fd, v17
	v_fma_f16 v15, v7, s15, -v15
	v_add_f16_e32 v20, v20, v28
	v_fma_f16 v28, v18, s14, v27
	v_add_f16_e32 v15, v15, v16
	v_fma_f16 v16, v18, s16, v27
	v_mul_f16_e32 v27, 0x3770, v8
	v_add_f16_e32 v21, v21, v29
	v_fma_f16 v29, v7, s7, v27
	v_fma_f16 v27, v7, s7, -v27
	v_add_f16_e32 v16, v16, v30
	v_mul_f16_e32 v30, 0x3b15, v17
	v_add_f16_e32 v27, v27, v33
	v_mul_f16_e32 v33, 0xbbf1, v8
	v_add_f16_e32 v28, v28, v34
	v_add_f16_e32 v29, v29, v35
	v_fma_f16 v34, v18, s6, v30
	v_fma_f16 v30, v18, s8, v30
	;; [unrolled: 1-line block ×3, first 2 shown]
	v_fma_f16 v33, v7, s1, -v33
	v_add_f16_e32 v30, v30, v36
	v_mul_f16_e32 v36, 0x2fb7, v17
	v_add_f16_e32 v33, v33, v37
	v_mul_f16_e32 v37, 0x33a8, v8
	v_add_f16_e32 v34, v34, v38
	v_add_f16_e32 v35, v35, v39
	v_fma_f16 v38, v18, s2, v36
	v_fma_f16 v36, v18, s0, v36
	;; [unrolled: 1-line block ×3, first 2 shown]
	v_fma_f16 v37, v7, s18, -v37
	v_mul_f16_e32 v8, 0x3a95, v8
	v_add_f16_e32 v36, v36, v40
	v_mul_f16_e32 v40, 0xbbc4, v17
	v_add_f16_e32 v37, v37, v41
	v_fma_f16 v41, v7, s4, v8
	v_mul_f16_e32 v17, 0x388b, v17
	v_fma_f16 v7, v7, s4, -v8
	v_add_f16_e32 v5, v7, v5
	v_fma_f16 v7, v18, s5, v17
	v_add_f16_e32 v8, v9, v12
	v_sub_f16_e32 v9, v9, v12
	v_add_f16_e32 v6, v7, v6
	v_add_f16_e32 v7, v23, v26
	v_mul_f16_e32 v12, 0xb94e, v9
	v_add_f16_e32 v38, v38, v42
	v_add_f16_e32 v39, v39, v43
	v_fma_f16 v42, v18, s17, v40
	v_fma_f16 v40, v18, s19, v40
	;; [unrolled: 1-line block ×4, first 2 shown]
	v_sub_f16_e32 v17, v23, v26
	v_add_f16_e32 v18, v18, v19
	v_mul_f16_e32 v19, 0xb9fd, v8
	v_fma_f16 v12, v7, s15, -v12
	v_add_f16_e32 v12, v12, v13
	v_fma_f16 v13, v17, s14, v19
	v_add_f16_e32 v13, v13, v14
	v_mul_f16_e32 v14, 0x3bf1, v9
	v_fma_f16 v23, v17, s16, v19
	v_fma_f16 v19, v7, s1, v14
	v_add_f16_e32 v19, v19, v20
	v_mul_f16_e32 v20, 0x2fb7, v8
	v_fma_f16 v14, v7, s1, -v14
	v_add_f16_e32 v14, v14, v15
	v_fma_f16 v15, v17, s2, v20
	v_add_f16_e32 v15, v15, v16
	v_mul_f16_e32 v16, 0xba95, v9
	v_add_f16_e32 v21, v23, v21
	v_fma_f16 v23, v17, s0, v20
	v_fma_f16 v20, v7, s4, v16
	v_fma_f16 v16, v7, s4, -v16
	v_mul_f16_e32 v26, 0x388b, v8
	v_add_f16_e32 v16, v16, v27
	v_mul_f16_e32 v27, 0x33a8, v9
	v_add_f16_e32 v23, v23, v28
	v_add_f16_e32 v20, v20, v29
	v_fma_f16 v28, v17, s5, v26
	v_fma_f16 v26, v17, s3, v26
	;; [unrolled: 1-line block ×3, first 2 shown]
	v_fma_f16 v27, v7, s18, -v27
	v_add_f16_e32 v26, v26, v30
	v_mul_f16_e32 v30, 0xbbc4, v8
	v_add_f16_e32 v27, v27, v33
	v_mul_f16_e32 v33, 0x3770, v9
	v_add_f16_e32 v28, v28, v34
	v_add_f16_e32 v29, v29, v35
	v_fma_f16 v34, v17, s17, v30
	v_fma_f16 v30, v17, s19, v30
	v_fma_f16 v35, v7, s7, v33
	v_fma_f16 v33, v7, s7, -v33
	v_mul_f16_e32 v9, 0xbb7b, v9
	v_add_f16_e32 v30, v30, v36
	v_mul_f16_e32 v36, 0x3b15, v8
	v_add_f16_e32 v33, v33, v37
	v_fma_f16 v37, v7, s10, v9
	v_mul_f16_e32 v8, 0xb5ac, v8
	v_fma_f16 v7, v7, s10, -v9
	v_add_f16_e32 v35, v35, v39
	v_fma_f16 v39, v17, s11, v8
	v_add_f16_e32 v5, v7, v5
	v_fma_f16 v7, v17, s9, v8
	v_add_f16_e32 v8, v10, v11
	v_sub_f16_e32 v10, v10, v11
	v_add_f16_e32 v6, v7, v6
	v_add_f16_e32 v7, v24, v25
	v_mul_f16_e32 v11, 0xb3a8, v10
	v_add_f16_e32 v34, v34, v38
	v_fma_f16 v38, v17, s6, v36
	v_fma_f16 v36, v17, s8, v36
	;; [unrolled: 1-line block ×3, first 2 shown]
	v_sub_f16_e32 v9, v24, v25
	v_add_f16_e32 v17, v17, v18
	v_mul_f16_e32 v18, 0xbbc4, v8
	v_fma_f16 v11, v7, s18, -v11
	v_add_f16_e32 v11, v11, v12
	v_fma_f16 v12, v9, s17, v18
	v_add_f16_e32 v12, v12, v13
	v_mul_f16_e32 v13, 0x3770, v10
	v_fma_f16 v24, v9, s19, v18
	v_fma_f16 v18, v7, s7, v13
	v_add_f16_e32 v18, v18, v19
	v_mul_f16_e32 v19, 0x3b15, v8
	v_fma_f16 v13, v7, s7, -v13
	v_add_f16_e32 v13, v13, v14
	v_fma_f16 v14, v9, s8, v19
	v_add_f16_e32 v14, v14, v15
	v_mul_f16_e32 v15, 0xb94e, v10
	v_add_f16_e32 v21, v24, v21
	v_fma_f16 v24, v9, s6, v19
	v_fma_f16 v19, v7, s15, v15
	v_add_f16_e32 v19, v19, v20
	v_mul_f16_e32 v20, 0xb9fd, v8
	v_fma_f16 v15, v7, s15, -v15
	v_add_f16_e32 v23, v24, v23
	v_fma_f16 v24, v9, s16, v20
	v_add_f16_e32 v15, v15, v16
	v_fma_f16 v16, v9, s14, v20
	v_mul_f16_e32 v20, 0x3a95, v10
	v_fma_f16 v25, v7, s4, v20
	v_fma_f16 v20, v7, s4, -v20
	v_add_f16_e32 v16, v16, v26
	v_mul_f16_e32 v26, 0x388b, v8
	v_add_f16_e32 v20, v20, v27
	v_mul_f16_e32 v27, 0xbb7b, v10
	v_add_f16_e32 v50, v50, v52
	v_add_f16_e32 v24, v24, v28
	;; [unrolled: 1-line block ×3, first 2 shown]
	v_fma_f16 v28, v9, s3, v26
	v_fma_f16 v26, v9, s5, v26
	;; [unrolled: 1-line block ×3, first 2 shown]
	v_fma_f16 v27, v7, s10, -v27
	v_mul_f16_e32 v10, 0x3bf1, v10
	v_add_f16_e32 v49, v49, v53
	v_add_f16_e32 v51, v51, v54
	;; [unrolled: 1-line block ×4, first 2 shown]
	v_mul_f16_e32 v30, 0xb5ac, v8
	v_add_f16_e32 v27, v27, v33
	v_fma_f16 v33, v7, s1, v10
	v_mul_f16_e32 v8, 0x2fb7, v8
	v_fma_f16 v7, v7, s1, -v10
	v_add_f16_e32 v45, v45, v49
	v_add_f16_e32 v47, v47, v51
	;; [unrolled: 1-line block ×4, first 2 shown]
	v_fma_f16 v7, v9, s2, v8
	v_add_f16_e32 v44, v44, v48
	v_add_f16_e32 v41, v41, v45
	;; [unrolled: 1-line block ×6, first 2 shown]
	v_fma_f16 v34, v9, s11, v30
	v_fma_f16 v35, v9, s0, v8
	v_add_f16_e32 v6, v7, v6
	v_pack_b32_f16 v7, v31, v32
	v_pack_b32_f16 v8, v17, v21
	v_add_f16_e32 v40, v40, v44
	v_add_f16_e32 v37, v37, v41
	;; [unrolled: 1-line block ×4, first 2 shown]
	ds_write2_b32 v1, v7, v8 offset1:34
	v_pack_b32_f16 v7, v18, v23
	v_pack_b32_f16 v8, v19, v24
	v_add_f16_e32 v36, v36, v40
	v_fma_f16 v30, v9, s9, v30
	v_add_f16_e32 v33, v33, v37
	v_add_f16_e32 v35, v35, v39
	ds_write2_b32 v1, v7, v8 offset0:68 offset1:102
	v_pack_b32_f16 v7, v25, v28
	v_pack_b32_f16 v8, v29, v34
	v_add_f16_e32 v30, v30, v36
	ds_write2_b32 v1, v7, v8 offset0:136 offset1:170
	v_pack_b32_f16 v7, v33, v35
	v_pack_b32_f16 v5, v5, v6
	ds_write2_b32 v1, v7, v5 offset0:204 offset1:238
	v_pack_b32_f16 v5, v27, v30
	v_pack_b32_f16 v6, v20, v26
	;; [unrolled: 3-line block ×3, first 2 shown]
	ds_write2_b32 v4, v5, v6 offset0:84 offset1:118
	v_pack_b32_f16 v4, v11, v12
	ds_write_b32 v1, v4 offset:1632
	s_waitcnt lgkmcnt(0)
	s_barrier
	s_and_saveexec_b64 s[0:1], vcc
	s_cbranch_execz .LBB0_26
; %bb.25:
	v_lshl_add_u32 v6, v0, 2, v22
	v_mov_b32_e32 v1, 0
	ds_read2_b32 v[4:5], v6 offset1:34
	v_mov_b32_e32 v7, s13
	v_add_co_u32_e32 v8, vcc, s12, v2
	v_addc_co_u32_e32 v7, vcc, v7, v3, vcc
	v_lshlrev_b64 v[2:3], 2, v[0:1]
	v_add_u32_e32 v9, 0x400, v6
	v_add_co_u32_e32 v2, vcc, v8, v2
	v_addc_co_u32_e32 v3, vcc, v7, v3, vcc
	s_waitcnt lgkmcnt(0)
	global_store_dword v[2:3], v4, off
	v_add_u32_e32 v2, 34, v0
	v_mov_b32_e32 v3, v1
	v_lshlrev_b64 v[2:3], 2, v[2:3]
	v_add_co_u32_e32 v2, vcc, v8, v2
	v_addc_co_u32_e32 v3, vcc, v7, v3, vcc
	global_store_dword v[2:3], v5, off
	v_add_u32_e32 v2, 0x44, v0
	v_mov_b32_e32 v3, v1
	ds_read2_b32 v[4:5], v6 offset0:68 offset1:102
	v_lshlrev_b64 v[2:3], 2, v[2:3]
	v_add_co_u32_e32 v2, vcc, v8, v2
	v_addc_co_u32_e32 v3, vcc, v7, v3, vcc
	s_waitcnt lgkmcnt(0)
	global_store_dword v[2:3], v4, off
	v_add_u32_e32 v2, 0x66, v0
	v_mov_b32_e32 v3, v1
	v_lshlrev_b64 v[2:3], 2, v[2:3]
	v_add_co_u32_e32 v2, vcc, v8, v2
	v_addc_co_u32_e32 v3, vcc, v7, v3, vcc
	global_store_dword v[2:3], v5, off
	v_add_u32_e32 v2, 0x88, v0
	v_mov_b32_e32 v3, v1
	ds_read2_b32 v[4:5], v6 offset0:136 offset1:170
	v_lshlrev_b64 v[2:3], 2, v[2:3]
	v_add_co_u32_e32 v2, vcc, v8, v2
	v_addc_co_u32_e32 v3, vcc, v7, v3, vcc
	s_waitcnt lgkmcnt(0)
	global_store_dword v[2:3], v4, off
	v_add_u32_e32 v2, 0xaa, v0
	v_mov_b32_e32 v3, v1
	v_lshlrev_b64 v[2:3], 2, v[2:3]
	v_add_co_u32_e32 v2, vcc, v8, v2
	v_addc_co_u32_e32 v3, vcc, v7, v3, vcc
	global_store_dword v[2:3], v5, off
	v_add_u32_e32 v2, 0xcc, v0
	v_mov_b32_e32 v3, v1
	ds_read2_b32 v[4:5], v6 offset0:204 offset1:238
	v_lshlrev_b64 v[2:3], 2, v[2:3]
	v_add_co_u32_e32 v2, vcc, v8, v2
	v_addc_co_u32_e32 v3, vcc, v7, v3, vcc
	s_waitcnt lgkmcnt(0)
	global_store_dword v[2:3], v4, off
	v_add_u32_e32 v2, 0xee, v0
	v_mov_b32_e32 v3, v1
	v_lshlrev_b64 v[2:3], 2, v[2:3]
	v_add_co_u32_e32 v2, vcc, v8, v2
	v_addc_co_u32_e32 v3, vcc, v7, v3, vcc
	global_store_dword v[2:3], v5, off
	v_add_u32_e32 v2, 0x110, v0
	v_mov_b32_e32 v3, v1
	ds_read2_b32 v[4:5], v9 offset0:16 offset1:50
	v_lshlrev_b64 v[2:3], 2, v[2:3]
	v_add_co_u32_e32 v2, vcc, v8, v2
	v_addc_co_u32_e32 v3, vcc, v7, v3, vcc
	s_waitcnt lgkmcnt(0)
	global_store_dword v[2:3], v4, off
	v_add_u32_e32 v2, 0x132, v0
	v_mov_b32_e32 v3, v1
	v_lshlrev_b64 v[2:3], 2, v[2:3]
	v_add_co_u32_e32 v2, vcc, v8, v2
	v_addc_co_u32_e32 v3, vcc, v7, v3, vcc
	global_store_dword v[2:3], v5, off
	v_add_u32_e32 v2, 0x154, v0
	v_mov_b32_e32 v3, v1
	ds_read2_b32 v[4:5], v9 offset0:84 offset1:118
	v_lshlrev_b64 v[2:3], 2, v[2:3]
	v_add_co_u32_e32 v2, vcc, v8, v2
	v_addc_co_u32_e32 v3, vcc, v7, v3, vcc
	s_waitcnt lgkmcnt(0)
	global_store_dword v[2:3], v4, off
	v_add_u32_e32 v2, 0x176, v0
	v_mov_b32_e32 v3, v1
	v_lshlrev_b64 v[2:3], 2, v[2:3]
	v_add_u32_e32 v0, 0x198, v0
	v_add_co_u32_e32 v2, vcc, v8, v2
	v_addc_co_u32_e32 v3, vcc, v7, v3, vcc
	global_store_dword v[2:3], v5, off
	ds_read_b32 v2, v6 offset:1632
	v_lshlrev_b64 v[0:1], 2, v[0:1]
	v_add_co_u32_e32 v0, vcc, v8, v0
	v_addc_co_u32_e32 v1, vcc, v7, v1, vcc
	s_waitcnt lgkmcnt(0)
	global_store_dword v[0:1], v2, off
.LBB0_26:
	s_endpgm
	.section	.rodata,"a",@progbits
	.p2align	6, 0x0
	.amdhsa_kernel fft_rtc_back_len442_factors_17_2_13_wgs_238_tpt_34_halfLds_half_ip_CI_unitstride_sbrr_C2R_dirReg
		.amdhsa_group_segment_fixed_size 0
		.amdhsa_private_segment_fixed_size 0
		.amdhsa_kernarg_size 88
		.amdhsa_user_sgpr_count 6
		.amdhsa_user_sgpr_private_segment_buffer 1
		.amdhsa_user_sgpr_dispatch_ptr 0
		.amdhsa_user_sgpr_queue_ptr 0
		.amdhsa_user_sgpr_kernarg_segment_ptr 1
		.amdhsa_user_sgpr_dispatch_id 0
		.amdhsa_user_sgpr_flat_scratch_init 0
		.amdhsa_user_sgpr_private_segment_size 0
		.amdhsa_uses_dynamic_stack 0
		.amdhsa_system_sgpr_private_segment_wavefront_offset 0
		.amdhsa_system_sgpr_workgroup_id_x 1
		.amdhsa_system_sgpr_workgroup_id_y 0
		.amdhsa_system_sgpr_workgroup_id_z 0
		.amdhsa_system_sgpr_workgroup_info 0
		.amdhsa_system_vgpr_workitem_id 0
		.amdhsa_next_free_vgpr 123
		.amdhsa_next_free_sgpr 32
		.amdhsa_reserve_vcc 1
		.amdhsa_reserve_flat_scratch 0
		.amdhsa_float_round_mode_32 0
		.amdhsa_float_round_mode_16_64 0
		.amdhsa_float_denorm_mode_32 3
		.amdhsa_float_denorm_mode_16_64 3
		.amdhsa_dx10_clamp 1
		.amdhsa_ieee_mode 1
		.amdhsa_fp16_overflow 0
		.amdhsa_exception_fp_ieee_invalid_op 0
		.amdhsa_exception_fp_denorm_src 0
		.amdhsa_exception_fp_ieee_div_zero 0
		.amdhsa_exception_fp_ieee_overflow 0
		.amdhsa_exception_fp_ieee_underflow 0
		.amdhsa_exception_fp_ieee_inexact 0
		.amdhsa_exception_int_div_zero 0
	.end_amdhsa_kernel
	.text
.Lfunc_end0:
	.size	fft_rtc_back_len442_factors_17_2_13_wgs_238_tpt_34_halfLds_half_ip_CI_unitstride_sbrr_C2R_dirReg, .Lfunc_end0-fft_rtc_back_len442_factors_17_2_13_wgs_238_tpt_34_halfLds_half_ip_CI_unitstride_sbrr_C2R_dirReg
                                        ; -- End function
	.section	.AMDGPU.csdata,"",@progbits
; Kernel info:
; codeLenInByte = 12752
; NumSgprs: 36
; NumVgprs: 123
; ScratchSize: 0
; MemoryBound: 0
; FloatMode: 240
; IeeeMode: 1
; LDSByteSize: 0 bytes/workgroup (compile time only)
; SGPRBlocks: 4
; VGPRBlocks: 30
; NumSGPRsForWavesPerEU: 36
; NumVGPRsForWavesPerEU: 123
; Occupancy: 2
; WaveLimiterHint : 1
; COMPUTE_PGM_RSRC2:SCRATCH_EN: 0
; COMPUTE_PGM_RSRC2:USER_SGPR: 6
; COMPUTE_PGM_RSRC2:TRAP_HANDLER: 0
; COMPUTE_PGM_RSRC2:TGID_X_EN: 1
; COMPUTE_PGM_RSRC2:TGID_Y_EN: 0
; COMPUTE_PGM_RSRC2:TGID_Z_EN: 0
; COMPUTE_PGM_RSRC2:TIDIG_COMP_CNT: 0
	.type	__hip_cuid_30631cebc35ddcca,@object ; @__hip_cuid_30631cebc35ddcca
	.section	.bss,"aw",@nobits
	.globl	__hip_cuid_30631cebc35ddcca
__hip_cuid_30631cebc35ddcca:
	.byte	0                               ; 0x0
	.size	__hip_cuid_30631cebc35ddcca, 1

	.ident	"AMD clang version 19.0.0git (https://github.com/RadeonOpenCompute/llvm-project roc-6.4.0 25133 c7fe45cf4b819c5991fe208aaa96edf142730f1d)"
	.section	".note.GNU-stack","",@progbits
	.addrsig
	.addrsig_sym __hip_cuid_30631cebc35ddcca
	.amdgpu_metadata
---
amdhsa.kernels:
  - .args:
      - .actual_access:  read_only
        .address_space:  global
        .offset:         0
        .size:           8
        .value_kind:     global_buffer
      - .offset:         8
        .size:           8
        .value_kind:     by_value
      - .actual_access:  read_only
        .address_space:  global
        .offset:         16
        .size:           8
        .value_kind:     global_buffer
      - .actual_access:  read_only
        .address_space:  global
        .offset:         24
        .size:           8
        .value_kind:     global_buffer
      - .offset:         32
        .size:           8
        .value_kind:     by_value
      - .actual_access:  read_only
        .address_space:  global
        .offset:         40
        .size:           8
        .value_kind:     global_buffer
      - .actual_access:  read_only
        .address_space:  global
        .offset:         48
        .size:           8
        .value_kind:     global_buffer
      - .offset:         56
        .size:           4
        .value_kind:     by_value
      - .actual_access:  read_only
        .address_space:  global
        .offset:         64
        .size:           8
        .value_kind:     global_buffer
      - .actual_access:  read_only
        .address_space:  global
        .offset:         72
        .size:           8
        .value_kind:     global_buffer
      - .address_space:  global
        .offset:         80
        .size:           8
        .value_kind:     global_buffer
    .group_segment_fixed_size: 0
    .kernarg_segment_align: 8
    .kernarg_segment_size: 88
    .language:       OpenCL C
    .language_version:
      - 2
      - 0
    .max_flat_workgroup_size: 238
    .name:           fft_rtc_back_len442_factors_17_2_13_wgs_238_tpt_34_halfLds_half_ip_CI_unitstride_sbrr_C2R_dirReg
    .private_segment_fixed_size: 0
    .sgpr_count:     36
    .sgpr_spill_count: 0
    .symbol:         fft_rtc_back_len442_factors_17_2_13_wgs_238_tpt_34_halfLds_half_ip_CI_unitstride_sbrr_C2R_dirReg.kd
    .uniform_work_group_size: 1
    .uses_dynamic_stack: false
    .vgpr_count:     123
    .vgpr_spill_count: 0
    .wavefront_size: 64
amdhsa.target:   amdgcn-amd-amdhsa--gfx906
amdhsa.version:
  - 1
  - 2
...

	.end_amdgpu_metadata
